;; amdgpu-corpus repo=ROCm/rocFFT kind=compiled arch=gfx950 opt=O3
	.text
	.amdgcn_target "amdgcn-amd-amdhsa--gfx950"
	.amdhsa_code_object_version 6
	.protected	bluestein_single_back_len784_dim1_dp_op_CI_CI ; -- Begin function bluestein_single_back_len784_dim1_dp_op_CI_CI
	.globl	bluestein_single_back_len784_dim1_dp_op_CI_CI
	.p2align	8
	.type	bluestein_single_back_len784_dim1_dp_op_CI_CI,@function
bluestein_single_back_len784_dim1_dp_op_CI_CI: ; @bluestein_single_back_len784_dim1_dp_op_CI_CI
; %bb.0:
	s_load_dwordx4 s[12:15], s[0:1], 0x28
	v_mul_u32_u24_e32 v1, 0x493, v0
	v_add_u32_sdwa v196, s2, v1 dst_sel:DWORD dst_unused:UNUSED_PAD src0_sel:DWORD src1_sel:WORD_1
	v_mov_b32_e32 v197, 0
	s_waitcnt lgkmcnt(0)
	v_cmp_gt_u64_e32 vcc, s[12:13], v[196:197]
	s_and_saveexec_b64 s[2:3], vcc
	s_cbranch_execz .LBB0_2
; %bb.1:
	s_load_dwordx4 s[4:7], s[0:1], 0x0
	s_load_dwordx4 s[8:11], s[0:1], 0x18
	s_load_dwordx2 s[2:3], s[0:1], 0x38
	v_mov_b32_e32 v2, s14
	v_mov_b32_e32 v3, s15
	;; [unrolled: 1-line block ×3, first 2 shown]
	s_movk_i32 s26, 0x1000
	s_waitcnt lgkmcnt(0)
	v_mov_b32_e32 v4, s2
	v_mov_b32_e32 v5, s3
	s_load_dwordx4 s[0:3], s[10:11], 0x0
	v_accvgpr_write_b32 a0, v4
	v_accvgpr_write_b32 a1, v5
	s_add_u32 s24, s4, 0x3100
	v_mov_b32_e32 v235, 0xffffeb00
	s_waitcnt lgkmcnt(0)
	v_mad_u64_u32 v[246:247], s[10:11], s2, v196, 0
	s_load_dwordx4 s[8:11], s[8:9], 0x0
	v_mov_b32_e32 v4, v247
	v_mad_u64_u32 v[4:5], s[2:3], s3, v196, v[4:5]
	v_mov_b32_e32 v247, v4
	s_waitcnt lgkmcnt(0)
	v_mad_u64_u32 v[4:5], s[2:3], s10, v196, 0
	v_mov_b32_e32 v6, v5
	v_mad_u64_u32 v[6:7], s[2:3], s11, v196, v[6:7]
	v_mov_b32_e32 v5, v6
	v_mov_b32_e32 v6, 56
	v_mul_lo_u16_sdwa v1, v1, v6 dst_sel:DWORD dst_unused:UNUSED_PAD src0_sel:WORD_1 src1_sel:DWORD
	v_sub_u16_e32 v236, v0, v1
	v_mad_u64_u32 v[0:1], s[2:3], s8, v236, 0
	v_mov_b32_e32 v6, v1
	v_mad_u64_u32 v[6:7], s[2:3], s9, v236, v[6:7]
	v_mov_b32_e32 v1, v6
	v_lshl_add_u64 v[24:25], v[4:5], 4, v[2:3]
	v_lshl_add_u64 v[0:1], v[0:1], 4, v[24:25]
	v_lshlrev_b32_e32 v196, 4, v236
	global_load_dwordx4 v[4:7], v[0:1], off
	global_load_dwordx4 v[242:245], v196, s[4:5]
	v_lshl_add_u64 v[2:3], s[4:5], 0, v[196:197]
	v_mad_u64_u32 v[12:13], s[2:3], s8, v234, v[0:1]
	s_mul_i32 s2, s9, 0x1880
	v_add_co_u32_e32 v0, vcc, s26, v2
	v_add_u32_e32 v13, s2, v13
	s_nop 0
	v_addc_co_u32_e32 v1, vcc, 0, v3, vcc
	global_load_dwordx4 v[20:23], v[0:1], off offset:2176
	s_mul_i32 s3, s9, 0xffffeb00
	s_addc_u32 s25, s5, 0
	v_mad_u64_u32 v[28:29], s[10:11], s8, v235, v[12:13]
	s_sub_i32 s3, s3, s8
	v_add_u32_e32 v29, s3, v29
	s_movk_i32 s27, 0x2000
	v_add_co_u32_e32 v56, vcc, s27, v2
	v_add_u32_e32 v190, 56, v236
	s_nop 0
	v_addc_co_u32_e32 v57, vcc, 0, v3, vcc
	v_lshlrev_b32_e32 v96, 1, v236
	v_lshlrev_b32_e32 v239, 4, v96
	v_add_u32_e32 v97, 0x2a0, v96
	s_movk_i32 s28, 0x60
	s_mov_b32 s12, 0x5476071b
	s_mov_b32 s13, 0x3fe77f67
	;; [unrolled: 1-line block ×11, first 2 shown]
	s_waitcnt vmcnt(1)
	v_mul_f64 v[8:9], v[6:7], v[244:245]
	v_fmac_f64_e32 v[8:9], v[4:5], v[242:243]
	v_mul_f64 v[4:5], v[4:5], v[244:245]
	v_fma_f64 v[10:11], v[6:7], v[242:243], -v[4:5]
	global_load_dwordx4 v[4:7], v[12:13], off
	ds_write_b128 v196, v[8:11]
	s_waitcnt vmcnt(0)
	v_mul_f64 v[8:9], v[6:7], v[22:23]
	v_fmac_f64_e32 v[8:9], v[4:5], v[20:21]
	v_mul_f64 v[4:5], v[4:5], v[22:23]
	v_fma_f64 v[10:11], v[6:7], v[20:21], -v[4:5]
	ds_write_b128 v196, v[8:11] offset:6272
	global_load_dwordx4 v[4:7], v[28:29], off
	global_load_dwordx4 v[248:251], v196, s[4:5] offset:896
	v_or_b32_e32 v8, 0x1c0, v236
	v_lshlrev_b32_e32 v9, 4, v8
	global_load_dwordx4 v[198:201], v9, s[4:5]
	v_accvgpr_write_b32 a6, v8
	v_accvgpr_write_b32 a27, v9
	s_waitcnt vmcnt(1)
	v_mul_f64 v[12:13], v[6:7], v[250:251]
	v_fmac_f64_e32 v[12:13], v[4:5], v[248:249]
	v_mul_f64 v[4:5], v[4:5], v[250:251]
	v_fma_f64 v[14:15], v[6:7], v[248:249], -v[4:5]
	v_mad_u64_u32 v[4:5], s[10:11], s8, v8, 0
	v_mov_b32_e32 v6, v5
	v_mad_u64_u32 v[6:7], s[10:11], s9, v8, v[6:7]
	v_mov_b32_e32 v5, v6
	v_lshl_add_u64 v[4:5], v[4:5], 4, v[24:25]
	global_load_dwordx4 v[4:7], v[4:5], off
	s_mulk_i32 s9, 0x380
	ds_write_b128 v196, v[12:15] offset:896
	v_lshlrev_b32_e32 v14, 5, v236
	s_waitcnt vmcnt(0)
	v_mul_f64 v[24:25], v[6:7], v[200:201]
	v_fmac_f64_e32 v[24:25], v[4:5], v[198:199]
	v_mul_f64 v[4:5], v[4:5], v[200:201]
	v_fma_f64 v[26:27], v[6:7], v[198:199], -v[4:5]
	v_mov_b32_e32 v4, 0x380
	v_mad_u64_u32 v[32:33], s[10:11], s8, v4, v[28:29]
	ds_write_b128 v196, v[24:27] offset:7168
	v_add_u32_e32 v33, s9, v33
	global_load_dwordx4 v[4:7], v[32:33], off
	global_load_dwordx4 v[24:27], v196, s[4:5] offset:1792
	v_mad_u64_u32 v[36:37], s[10:11], s8, v234, v[32:33]
	v_add_u32_e32 v37, s2, v37
	v_mad_u64_u32 v[40:41], s[10:11], s8, v235, v[36:37]
	v_add_u32_e32 v41, s3, v41
	s_mov_b32 s9, 0xbfe11646
	s_waitcnt vmcnt(0)
	v_mul_f64 v[28:29], v[6:7], v[26:27]
	v_fmac_f64_e32 v[28:29], v[4:5], v[24:25]
	v_mul_f64 v[4:5], v[4:5], v[26:27]
	v_fma_f64 v[30:31], v[6:7], v[24:25], -v[4:5]
	ds_write_b128 v196, v[28:31] offset:1792
	global_load_dwordx4 v[4:7], v[36:37], off
	global_load_dwordx4 v[28:31], v[0:1], off offset:3968
	s_waitcnt vmcnt(0)
	v_mul_f64 v[32:33], v[6:7], v[30:31]
	v_fmac_f64_e32 v[32:33], v[4:5], v[28:29]
	v_mul_f64 v[4:5], v[4:5], v[30:31]
	v_fma_f64 v[34:35], v[6:7], v[28:29], -v[4:5]
	ds_write_b128 v196, v[32:35] offset:8064
	global_load_dwordx4 v[4:7], v[40:41], off
	global_load_dwordx4 v[32:35], v196, s[4:5] offset:2688
	v_mad_u64_u32 v[40:41], s[10:11], s8, v234, v[40:41]
	v_add_u32_e32 v41, s2, v41
	s_waitcnt vmcnt(0)
	v_mul_f64 v[36:37], v[6:7], v[34:35]
	v_fmac_f64_e32 v[36:37], v[4:5], v[32:33]
	v_mul_f64 v[4:5], v[4:5], v[34:35]
	v_fma_f64 v[38:39], v[6:7], v[32:33], -v[4:5]
	ds_write_b128 v196, v[36:39] offset:2688
	global_load_dwordx4 v[4:7], v[40:41], off
	global_load_dwordx4 v[36:39], v[56:57], off offset:768
	s_waitcnt vmcnt(0)
	v_mul_f64 v[2:3], v[6:7], v[38:39]
	v_fmac_f64_e32 v[2:3], v[4:5], v[36:37]
	v_mul_f64 v[4:5], v[4:5], v[38:39]
	v_fma_f64 v[4:5], v[6:7], v[36:37], -v[4:5]
	v_mad_u64_u32 v[6:7], s[10:11], s8, v235, v[40:41]
	ds_write_b128 v196, v[2:5] offset:8960
	v_add_u32_e32 v7, s3, v7
	global_load_dwordx4 v[2:5], v[6:7], off
	global_load_dwordx4 v[40:43], v196, s[4:5] offset:3584
	v_mad_u64_u32 v[6:7], s[4:5], s8, v234, v[6:7]
	v_add_u32_e32 v7, s2, v7
	s_mov_b32 s10, 0xaaaaaaaa
	s_mov_b32 s11, 0xbff2aaaa
	s_waitcnt vmcnt(0)
	v_mul_f64 v[44:45], v[4:5], v[42:43]
	v_fmac_f64_e32 v[44:45], v[2:3], v[40:41]
	v_mul_f64 v[2:3], v[2:3], v[42:43]
	v_fma_f64 v[46:47], v[4:5], v[40:41], -v[2:3]
	ds_write_b128 v196, v[44:47] offset:3584
	global_load_dwordx4 v[2:5], v[6:7], off
	global_load_dwordx4 v[44:47], v[56:57], off offset:1664
	v_mad_u64_u32 v[6:7], s[4:5], s8, v235, v[6:7]
	v_add_u32_e32 v7, s3, v7
	s_waitcnt vmcnt(0)
	v_mul_f64 v[48:49], v[4:5], v[46:47]
	v_fmac_f64_e32 v[48:49], v[2:3], v[44:45]
	v_mul_f64 v[2:3], v[2:3], v[46:47]
	v_fma_f64 v[50:51], v[4:5], v[44:45], -v[2:3]
	ds_write_b128 v196, v[48:51] offset:9856
	global_load_dwordx4 v[2:5], v[6:7], off
	global_load_dwordx4 v[48:51], v[0:1], off offset:384
	v_mad_u64_u32 v[6:7], s[4:5], s8, v234, v[6:7]
	v_add_u32_e32 v7, s2, v7
	v_mad_u64_u32 v[62:63], s[4:5], s8, v235, v[6:7]
	v_add_u32_e32 v63, s3, v63
	s_movk_i32 s3, 0x2fc
	s_waitcnt vmcnt(0)
	v_mul_f64 v[52:53], v[4:5], v[50:51]
	v_fmac_f64_e32 v[52:53], v[2:3], v[48:49]
	v_mul_f64 v[2:3], v[2:3], v[50:51]
	v_fma_f64 v[54:55], v[4:5], v[48:49], -v[2:3]
	ds_write_b128 v196, v[52:55] offset:4480
	global_load_dwordx4 v[2:5], v[6:7], off
	global_load_dwordx4 v[52:55], v[56:57], off offset:2560
	s_waitcnt vmcnt(0)
	v_mul_f64 v[58:59], v[4:5], v[54:55]
	v_fmac_f64_e32 v[58:59], v[2:3], v[52:53]
	v_mul_f64 v[2:3], v[2:3], v[54:55]
	v_fma_f64 v[60:61], v[4:5], v[52:53], -v[2:3]
	ds_write_b128 v196, v[58:61] offset:10752
	global_load_dwordx4 v[58:61], v[62:63], off
	global_load_dwordx4 v[252:255], v[0:1], off offset:1280
	s_waitcnt vmcnt(0)
	v_mul_f64 v[0:1], v[60:61], v[254:255]
	v_mul_f64 v[2:3], v[58:59], v[254:255]
	v_fmac_f64_e32 v[0:1], v[58:59], v[252:253]
	v_fma_f64 v[2:3], v[60:61], v[252:253], -v[2:3]
	v_mad_u64_u32 v[58:59], s[4:5], s8, v234, v[62:63]
	ds_write_b128 v196, v[0:3] offset:5376
	v_add_u32_e32 v59, s2, v59
	global_load_dwordx4 v[0:3], v[58:59], off
	global_load_dwordx4 v[4:7], v[56:57], off offset:3456
	s_movk_i32 s2, 0x7c
	s_mov_b32 s8, 0xe976ee23
	s_mov_b32 s4, 0x429ad128
	s_mov_b32 s5, 0xbfebfeb5
	s_mov_b32 s22, s4
	s_waitcnt vmcnt(0)
	v_mul_f64 v[56:57], v[2:3], v[6:7]
	v_fmac_f64_e32 v[56:57], v[0:1], v[4:5]
	v_mul_f64 v[0:1], v[0:1], v[6:7]
	v_fma_f64 v[58:59], v[2:3], v[4:5], -v[0:1]
	ds_write_b128 v196, v[56:59] offset:11648
	s_waitcnt lgkmcnt(0)
	; wave barrier
	s_waitcnt lgkmcnt(0)
	ds_read_b128 v[0:3], v196
	ds_read_b128 v[56:59], v196 offset:6272
	ds_read_b128 v[60:63], v196 offset:896
	;; [unrolled: 1-line block ×13, first 2 shown]
	s_waitcnt lgkmcnt(12)
	v_add_f64 v[56:57], v[0:1], -v[56:57]
	v_add_f64 v[58:59], v[2:3], -v[58:59]
	v_fma_f64 v[0:1], v[0:1], 2.0, -v[56:57]
	v_fma_f64 v[2:3], v[2:3], 2.0, -v[58:59]
	s_waitcnt lgkmcnt(10)
	v_add_f64 v[64:65], v[60:61], -v[64:65]
	v_add_f64 v[66:67], v[62:63], -v[66:67]
	v_fma_f64 v[60:61], v[60:61], 2.0, -v[64:65]
	v_fma_f64 v[62:63], v[62:63], 2.0, -v[66:67]
	s_waitcnt lgkmcnt(8)
	v_add_f64 v[72:73], v[68:69], -v[72:73]
	v_add_f64 v[74:75], v[70:71], -v[74:75]
	s_waitcnt lgkmcnt(2)
	v_add_f64 v[110:111], v[92:93], -v[98:99]
	s_waitcnt lgkmcnt(0)
	; wave barrier
	s_waitcnt lgkmcnt(0)
	ds_write_b128 v14, v[0:3]
	ds_write_b128 v14, v[56:59] offset:16
	v_lshlrev_b32_e32 v1, 5, v190
	v_add_u32_e32 v98, 0xe0, v96
	v_fma_f64 v[68:69], v[68:69], 2.0, -v[72:73]
	v_fma_f64 v[70:71], v[70:71], 2.0, -v[74:75]
	v_add_f64 v[80:81], v[76:77], -v[80:81]
	v_add_f64 v[82:83], v[78:79], -v[82:83]
	;; [unrolled: 1-line block ×3, first 2 shown]
	ds_write_b128 v14, v[60:63] offset:1792
	ds_write_b128 v1, v[64:67] offset:16
	v_accvgpr_write_b32 a24, v1
	v_lshlrev_b32_e32 v1, 4, v98
	v_add_u32_e32 v100, 0x150, v96
	v_fma_f64 v[76:77], v[76:77], 2.0, -v[80:81]
	v_fma_f64 v[78:79], v[78:79], 2.0, -v[82:83]
	v_add_f64 v[88:89], v[84:85], -v[88:89]
	v_add_f64 v[90:91], v[86:87], -v[90:91]
	ds_write_b128 v239, v[68:71] offset:3584
	ds_write_b128 v1, v[72:75] offset:16
	v_accvgpr_write_b32 a21, v1
	v_lshlrev_b32_e32 v1, 4, v100
	v_add_u32_e32 v99, 0x1c0, v96
	v_fma_f64 v[84:85], v[84:85], 2.0, -v[88:89]
	v_fma_f64 v[86:87], v[86:87], 2.0, -v[90:91]
	ds_write_b128 v239, v[76:79] offset:5376
	ds_write_b128 v1, v[80:83] offset:16
	v_accvgpr_write_b32 a17, v1
	v_lshlrev_b32_e32 v1, 4, v99
	ds_write_b128 v239, v[84:87] offset:7168
	ds_write_b128 v1, v[88:91] offset:16
	v_accvgpr_write_b32 a14, v1
	v_add_u32_e32 v1, 0x230, v96
	v_accvgpr_write_b32 a2, v4
	v_fma_f64 v[92:93], v[92:93], 2.0, -v[110:111]
	v_fma_f64 v[94:95], v[94:95], 2.0, -v[112:113]
	v_add_f64 v[106:107], v[102:103], -v[106:107]
	v_add_f64 v[108:109], v[104:105], -v[108:109]
	v_lshlrev_b32_e32 v2, 4, v1
	v_accvgpr_write_b32 a3, v5
	v_accvgpr_write_b32 a4, v6
	;; [unrolled: 1-line block ×3, first 2 shown]
	v_fma_f64 v[102:103], v[102:103], 2.0, -v[106:107]
	v_fma_f64 v[104:105], v[104:105], 2.0, -v[108:109]
	ds_write_b128 v239, v[92:95] offset:8960
	ds_write_b128 v2, v[110:113] offset:16
	v_accvgpr_write_b32 a13, v2
	v_lshlrev_b32_e32 v2, 4, v97
	v_and_b32_e32 v4, 1, v236
	ds_write_b128 v239, v[102:105] offset:10752
	ds_write_b128 v2, v[106:109] offset:16
	v_accvgpr_write_b32 a12, v2
	v_lshlrev_b32_e32 v2, 4, v4
	s_waitcnt lgkmcnt(0)
	; wave barrier
	s_waitcnt lgkmcnt(0)
	ds_read_b128 v[84:87], v196
	ds_read_b128 v[88:91], v196 offset:6272
	ds_read_b128 v[80:83], v196 offset:896
	;; [unrolled: 1-line block ×13, first 2 shown]
	global_load_dwordx4 v[60:63], v2, s[6:7]
	v_lshlrev_b32_e32 v0, 1, v190
	s_waitcnt lgkmcnt(0)
	; wave barrier
	s_waitcnt vmcnt(0) lgkmcnt(0)
	v_mul_f64 v[2:3], v[90:91], v[62:63]
	v_fma_f64 v[2:3], v[88:89], v[60:61], -v[2:3]
	v_mul_f64 v[122:123], v[88:89], v[62:63]
	v_mul_f64 v[88:89], v[94:95], v[62:63]
	v_fma_f64 v[124:125], v[92:93], v[60:61], -v[88:89]
	v_mul_f64 v[88:89], v[104:105], v[62:63]
	v_fma_f64 v[128:129], v[102:103], v[60:61], -v[88:89]
	;; [unrolled: 2-line block ×4, first 2 shown]
	v_mul_f64 v[88:89], v[116:117], v[62:63]
	v_fmac_f64_e32 v[122:123], v[90:91], v[60:61]
	v_fma_f64 v[140:141], v[114:115], v[60:61], -v[88:89]
	v_mul_f64 v[88:89], v[120:121], v[62:63]
	v_mul_f64 v[126:127], v[92:93], v[62:63]
	v_fma_f64 v[144:145], v[118:119], v[60:61], -v[88:89]
	v_add_f64 v[88:89], v[84:85], -v[2:3]
	v_add_f64 v[90:91], v[86:87], -v[122:123]
	v_and_or_b32 v2, v96, s2, v4
	v_fmac_f64_e32 v[126:127], v[94:95], v[60:61]
	v_fma_f64 v[84:85], v[84:85], 2.0, -v[88:89]
	v_fma_f64 v[86:87], v[86:87], 2.0, -v[90:91]
	v_lshlrev_b32_e32 v2, 4, v2
	s_movk_i32 s2, 0xfc
	v_mul_f64 v[130:131], v[102:103], v[62:63]
	v_add_f64 v[92:93], v[80:81], -v[124:125]
	v_add_f64 v[94:95], v[82:83], -v[126:127]
	ds_write_b128 v2, v[84:87]
	ds_write_b128 v2, v[88:91] offset:32
	v_accvgpr_write_b32 a15, v2
	v_and_or_b32 v2, v0, s2, v4
	v_fmac_f64_e32 v[130:131], v[104:105], v[60:61]
	v_fma_f64 v[80:81], v[80:81], 2.0, -v[92:93]
	v_fma_f64 v[82:83], v[82:83], 2.0, -v[94:95]
	v_lshlrev_b32_e32 v2, 4, v2
	s_movk_i32 s2, 0x1fc
	v_mul_f64 v[134:135], v[106:107], v[62:63]
	v_add_f64 v[102:103], v[76:77], -v[128:129]
	v_add_f64 v[104:105], v[78:79], -v[130:131]
	ds_write_b128 v2, v[80:83]
	ds_write_b128 v2, v[92:95] offset:32
	v_accvgpr_write_b32 a11, v2
	v_and_or_b32 v2, v98, s2, v4
	v_fmac_f64_e32 v[134:135], v[108:109], v[60:61]
	v_fma_f64 v[76:77], v[76:77], 2.0, -v[102:103]
	v_fma_f64 v[78:79], v[78:79], 2.0, -v[104:105]
	v_lshlrev_b32_e32 v2, 4, v2
	v_mul_f64 v[138:139], v[110:111], v[62:63]
	v_add_f64 v[106:107], v[72:73], -v[132:133]
	v_add_f64 v[108:109], v[74:75], -v[134:135]
	ds_write_b128 v2, v[76:79]
	ds_write_b128 v2, v[102:105] offset:32
	v_accvgpr_write_b32 a10, v2
	v_and_or_b32 v2, v100, s2, v4
	v_fmac_f64_e32 v[138:139], v[112:113], v[60:61]
	v_fma_f64 v[72:73], v[72:73], 2.0, -v[106:107]
	v_fma_f64 v[74:75], v[74:75], 2.0, -v[108:109]
	v_lshlrev_b32_e32 v2, 4, v2
	s_movk_i32 s2, 0x3fc
	v_mul_f64 v[142:143], v[114:115], v[62:63]
	v_add_f64 v[110:111], v[68:69], -v[136:137]
	v_add_f64 v[112:113], v[70:71], -v[138:139]
	ds_write_b128 v2, v[72:75]
	ds_write_b128 v2, v[106:109] offset:32
	v_accvgpr_write_b32 a9, v2
	v_and_or_b32 v2, v99, s2, v4
	v_fmac_f64_e32 v[142:143], v[116:117], v[60:61]
	v_fma_f64 v[68:69], v[68:69], 2.0, -v[110:111]
	v_fma_f64 v[70:71], v[70:71], 2.0, -v[112:113]
	v_lshlrev_b32_e32 v2, 4, v2
	v_add_f64 v[114:115], v[64:65], -v[140:141]
	v_add_f64 v[116:117], v[66:67], -v[142:143]
	ds_write_b128 v2, v[68:71]
	ds_write_b128 v2, v[110:113] offset:32
	v_accvgpr_write_b32 a8, v2
	v_and_or_b32 v2, v1, s3, v4
	v_mul_f64 v[146:147], v[118:119], v[62:63]
	v_fma_f64 v[64:65], v[64:65], 2.0, -v[114:115]
	v_fma_f64 v[66:67], v[66:67], 2.0, -v[116:117]
	v_lshlrev_b32_e32 v2, 4, v2
	v_fmac_f64_e32 v[146:147], v[120:121], v[60:61]
	ds_write_b128 v2, v[64:67]
	ds_write_b128 v2, v[114:117] offset:32
	v_accvgpr_write_b32 a7, v2
	v_and_or_b32 v2, v97, s2, v4
	v_add_f64 v[118:119], v[56:57], -v[144:145]
	v_add_f64 v[120:121], v[58:59], -v[146:147]
	v_lshlrev_b32_e32 v17, 4, v2
	v_and_b32_e32 v2, 3, v236
	v_fma_f64 v[56:57], v[56:57], 2.0, -v[118:119]
	v_fma_f64 v[58:59], v[58:59], 2.0, -v[120:121]
	v_lshlrev_b32_e32 v3, 4, v2
	ds_write_b128 v17, v[56:59]
	ds_write_b128 v17, v[118:121] offset:32
	s_waitcnt lgkmcnt(0)
	; wave barrier
	s_waitcnt lgkmcnt(0)
	ds_read_b128 v[88:91], v196
	ds_read_b128 v[92:95], v196 offset:6272
	ds_read_b128 v[84:87], v196 offset:896
	;; [unrolled: 1-line block ×13, first 2 shown]
	global_load_dwordx4 v[56:59], v3, s[6:7] offset:32
	s_movk_i32 s2, 0x78
	v_and_or_b32 v3, v96, s2, v2
	v_lshlrev_b32_e32 v3, 4, v3
	s_movk_i32 s2, 0xf8
	s_waitcnt lgkmcnt(0)
	; wave barrier
	s_waitcnt lgkmcnt(0)
	v_accvgpr_write_b32 a23, v3
	s_movk_i32 s3, 0x2f8
	s_waitcnt vmcnt(0)
	v_mul_f64 v[126:127], v[94:95], v[58:59]
	v_fma_f64 v[126:127], v[92:93], v[56:57], -v[126:127]
	v_mul_f64 v[128:129], v[92:93], v[58:59]
	v_mul_f64 v[92:93], v[104:105], v[58:59]
	v_fma_f64 v[130:131], v[102:103], v[56:57], -v[92:93]
	v_mul_f64 v[92:93], v[108:109], v[58:59]
	v_fma_f64 v[134:135], v[106:107], v[56:57], -v[92:93]
	;; [unrolled: 2-line block ×4, first 2 shown]
	v_mul_f64 v[92:93], v[120:121], v[58:59]
	v_fmac_f64_e32 v[128:129], v[94:95], v[56:57]
	v_fma_f64 v[146:147], v[118:119], v[56:57], -v[92:93]
	v_mul_f64 v[92:93], v[124:125], v[58:59]
	v_fma_f64 v[150:151], v[122:123], v[56:57], -v[92:93]
	v_add_f64 v[92:93], v[88:89], -v[126:127]
	v_add_f64 v[94:95], v[90:91], -v[128:129]
	v_mul_f64 v[132:133], v[102:103], v[58:59]
	v_mul_f64 v[136:137], v[106:107], v[58:59]
	v_fma_f64 v[88:89], v[88:89], 2.0, -v[92:93]
	v_fma_f64 v[90:91], v[90:91], 2.0, -v[94:95]
	v_fmac_f64_e32 v[132:133], v[104:105], v[56:57]
	v_fmac_f64_e32 v[136:137], v[108:109], v[56:57]
	ds_write_b128 v3, v[88:91]
	ds_write_b128 v3, v[92:95] offset:64
	v_and_or_b32 v3, v0, s2, v2
	s_movk_i32 s2, 0x1f8
	v_mul_f64 v[140:141], v[110:111], v[58:59]
	v_add_f64 v[102:103], v[84:85], -v[130:131]
	v_add_f64 v[104:105], v[86:87], -v[132:133]
	v_add_f64 v[106:107], v[80:81], -v[134:135]
	v_add_f64 v[108:109], v[82:83], -v[136:137]
	v_lshlrev_b32_e32 v13, 4, v3
	v_and_or_b32 v3, v98, s2, v2
	v_fmac_f64_e32 v[140:141], v[112:113], v[56:57]
	v_fma_f64 v[84:85], v[84:85], 2.0, -v[102:103]
	v_fma_f64 v[86:87], v[86:87], 2.0, -v[104:105]
	;; [unrolled: 1-line block ×4, first 2 shown]
	v_lshlrev_b32_e32 v3, 4, v3
	v_mul_f64 v[144:145], v[114:115], v[58:59]
	v_add_f64 v[110:111], v[76:77], -v[138:139]
	v_add_f64 v[112:113], v[78:79], -v[140:141]
	ds_write_b128 v13, v[84:87]
	ds_write_b128 v13, v[102:105] offset:64
	ds_write_b128 v3, v[80:83]
	ds_write_b128 v3, v[106:109] offset:64
	v_accvgpr_write_b32 a22, v3
	v_and_or_b32 v3, v100, s2, v2
	v_fmac_f64_e32 v[144:145], v[116:117], v[56:57]
	v_fma_f64 v[76:77], v[76:77], 2.0, -v[110:111]
	v_fma_f64 v[78:79], v[78:79], 2.0, -v[112:113]
	v_lshlrev_b32_e32 v3, 4, v3
	s_movk_i32 s2, 0x3f8
	v_mul_f64 v[148:149], v[118:119], v[58:59]
	v_mul_f64 v[152:153], v[122:123], v[58:59]
	v_add_f64 v[114:115], v[72:73], -v[142:143]
	v_add_f64 v[116:117], v[74:75], -v[144:145]
	ds_write_b128 v3, v[76:79]
	ds_write_b128 v3, v[110:113] offset:64
	v_accvgpr_write_b32 a20, v3
	v_and_or_b32 v3, v99, s2, v2
	v_fmac_f64_e32 v[148:149], v[120:121], v[56:57]
	v_fmac_f64_e32 v[152:153], v[124:125], v[56:57]
	v_fma_f64 v[72:73], v[72:73], 2.0, -v[114:115]
	v_fma_f64 v[74:75], v[74:75], 2.0, -v[116:117]
	v_lshlrev_b32_e32 v3, 4, v3
	v_add_f64 v[118:119], v[68:69], -v[146:147]
	v_add_f64 v[120:121], v[70:71], -v[148:149]
	;; [unrolled: 1-line block ×4, first 2 shown]
	ds_write_b128 v3, v[72:75]
	ds_write_b128 v3, v[114:117] offset:64
	v_accvgpr_write_b32 a19, v3
	v_and_or_b32 v3, v1, s3, v2
	v_and_or_b32 v2, v97, s2, v2
	v_fma_f64 v[68:69], v[68:69], 2.0, -v[118:119]
	v_fma_f64 v[70:71], v[70:71], 2.0, -v[120:121]
	;; [unrolled: 1-line block ×4, first 2 shown]
	v_lshlrev_b32_e32 v3, 4, v3
	v_lshlrev_b32_e32 v2, 4, v2
	ds_write_b128 v3, v[68:71]
	ds_write_b128 v3, v[118:121] offset:64
	ds_write_b128 v2, v[64:67]
	ds_write_b128 v2, v[122:125] offset:64
	v_accvgpr_write_b32 a16, v2
	v_and_b32_e32 v2, 7, v236
	v_accvgpr_write_b32 a18, v3
	v_lshlrev_b32_e32 v3, 4, v2
	s_waitcnt lgkmcnt(0)
	; wave barrier
	s_waitcnt lgkmcnt(0)
	ds_read_b128 v[92:95], v196
	ds_read_b128 v[102:105], v196 offset:6272
	ds_read_b128 v[88:91], v196 offset:896
	;; [unrolled: 1-line block ×13, first 2 shown]
	global_load_dwordx4 v[64:67], v3, s[6:7] offset:96
	s_movk_i32 s2, 0x70
	v_and_or_b32 v3, v96, s2, v2
	s_movk_i32 s2, 0xf0
	v_and_or_b32 v0, v0, s2, v2
	s_movk_i32 s2, 0x1f0
	v_lshlrev_b32_e32 v238, 4, v0
	v_and_or_b32 v0, v98, s2, v2
	v_lshlrev_b32_e32 v240, 4, v0
	v_and_or_b32 v0, v100, s2, v2
	s_movk_i32 s2, 0x3f0
	v_lshlrev_b32_e32 v241, 4, v0
	v_and_or_b32 v0, v99, s2, v2
	v_lshlrev_b32_e32 v237, 4, v3
	v_lshlrev_b32_e32 v0, 4, v0
	s_movk_i32 s3, 0x2f0
	s_waitcnt lgkmcnt(0)
	; wave barrier
	s_waitcnt lgkmcnt(0)
	v_accvgpr_write_b32 a26, v0
	s_waitcnt vmcnt(0)
	v_mul_f64 v[130:131], v[104:105], v[66:67]
	v_fma_f64 v[130:131], v[102:103], v[64:65], -v[130:131]
	v_mul_f64 v[132:133], v[102:103], v[66:67]
	v_mul_f64 v[102:103], v[108:109], v[66:67]
	v_fma_f64 v[134:135], v[106:107], v[64:65], -v[102:103]
	v_mul_f64 v[102:103], v[112:113], v[66:67]
	v_fma_f64 v[138:139], v[110:111], v[64:65], -v[102:103]
	;; [unrolled: 2-line block ×3, first 2 shown]
	v_mul_f64 v[102:103], v[120:121], v[66:67]
	v_mul_f64 v[136:137], v[106:107], v[66:67]
	;; [unrolled: 1-line block ×4, first 2 shown]
	v_fma_f64 v[146:147], v[118:119], v[64:65], -v[102:103]
	v_mul_f64 v[148:149], v[118:119], v[66:67]
	v_mul_f64 v[102:103], v[124:125], v[66:67]
	v_fmac_f64_e32 v[132:133], v[104:105], v[64:65]
	v_fmac_f64_e32 v[136:137], v[108:109], v[64:65]
	v_fmac_f64_e32 v[140:141], v[112:113], v[64:65]
	v_fmac_f64_e32 v[144:145], v[116:117], v[64:65]
	v_fmac_f64_e32 v[148:149], v[120:121], v[64:65]
	v_fma_f64 v[150:151], v[122:123], v[64:65], -v[102:103]
	v_mul_f64 v[102:103], v[128:129], v[66:67]
	v_fma_f64 v[154:155], v[126:127], v[64:65], -v[102:103]
	v_add_f64 v[102:103], v[92:93], -v[130:131]
	v_add_f64 v[104:105], v[94:95], -v[132:133]
	;; [unrolled: 1-line block ×10, first 2 shown]
	v_mul_f64 v[152:153], v[122:123], v[66:67]
	v_mul_f64 v[156:157], v[126:127], v[66:67]
	v_fma_f64 v[92:93], v[92:93], 2.0, -v[102:103]
	v_fma_f64 v[94:95], v[94:95], 2.0, -v[104:105]
	;; [unrolled: 1-line block ×10, first 2 shown]
	v_fmac_f64_e32 v[152:153], v[124:125], v[64:65]
	v_fmac_f64_e32 v[156:157], v[128:129], v[64:65]
	ds_write_b128 v237, v[92:95]
	ds_write_b128 v237, v[102:105] offset:128
	ds_write_b128 v238, v[88:91]
	ds_write_b128 v238, v[106:109] offset:128
	;; [unrolled: 2-line block ×5, first 2 shown]
	v_and_or_b32 v0, v1, s3, v2
	v_add_f64 v[122:123], v[72:73], -v[150:151]
	v_add_f64 v[124:125], v[74:75], -v[152:153]
	;; [unrolled: 1-line block ×4, first 2 shown]
	v_lshlrev_b32_e32 v15, 4, v0
	v_and_or_b32 v0, v97, s2, v2
	v_fma_f64 v[72:73], v[72:73], 2.0, -v[122:123]
	v_fma_f64 v[74:75], v[74:75], 2.0, -v[124:125]
	;; [unrolled: 1-line block ×4, first 2 shown]
	v_lshlrev_b32_e32 v0, 4, v0
	ds_write_b128 v15, v[72:75]
	ds_write_b128 v15, v[122:125] offset:128
	ds_write_b128 v0, v[68:71]
	ds_write_b128 v0, v[126:129] offset:128
	v_accvgpr_write_b32 a25, v0
	v_and_b32_e32 v0, 15, v236
	v_mov_b64_e32 v[148:149], s[6:7]
	v_mad_u64_u32 v[150:151], s[2:3], v0, s28, v[148:149]
	s_waitcnt lgkmcnt(0)
	; wave barrier
	s_waitcnt lgkmcnt(0)
	ds_read_b128 v[120:123], v196
	ds_read_b128 v[80:83], v196 offset:1792
	ds_read_b128 v[88:91], v196 offset:3584
	;; [unrolled: 1-line block ×13, first 2 shown]
	global_load_dwordx4 v[68:71], v[150:151], off offset:272
	global_load_dwordx4 v[72:75], v[150:151], off offset:256
	;; [unrolled: 1-line block ×4, first 2 shown]
	v_and_b32_e32 v1, 15, v190
	v_mad_u64_u32 v[174:175], s[2:3], v1, s28, v[148:149]
	s_mov_b32 s6, 0x37e14327
	s_mov_b32 s2, 0x36b3c0b5
	;; [unrolled: 1-line block ×4, first 2 shown]
	v_lshrrev_b32_e32 v2, 4, v236
	v_mul_u32_u24_e32 v2, 0x70, v2
	v_or_b32_e32 v0, v2, v0
	v_lshlrev_b32_e32 v16, 4, v0
	v_lshrrev_b32_e32 v0, 4, v190
	v_mul_u32_u24_e32 v0, 0x70, v0
	v_or_b32_e32 v0, v0, v1
	v_lshlrev_b32_e32 v12, 4, v0
	v_mad_u64_u32 v[148:149], s[28:29], v236, s28, v[148:149]
	s_mov_b64 s[28:29], 0x1500
	s_waitcnt vmcnt(3) lgkmcnt(9)
	v_mul_f64 v[168:169], v[108:109], v[70:71]
	s_waitcnt vmcnt(2)
	v_mul_f64 v[142:143], v[100:101], v[74:75]
	s_waitcnt vmcnt(1)
	;; [unrolled: 2-line block ×3, first 2 shown]
	v_mul_f64 v[140:141], v[82:83], v[86:87]
	v_fma_f64 v[170:171], v[80:81], v[84:85], -v[140:141]
	v_mul_f64 v[172:173], v[80:81], v[86:87]
	v_mul_f64 v[80:81], v[90:91], v[78:79]
	v_fma_f64 v[144:145], v[88:89], v[76:77], -v[80:81]
	v_mul_f64 v[80:81], v[102:103], v[74:75]
	v_fma_f64 v[140:141], v[100:101], v[72:73], -v[80:81]
	v_mul_f64 v[80:81], v[110:111], v[70:71]
	v_fmac_f64_e32 v[172:173], v[82:83], v[84:85]
	v_fmac_f64_e32 v[146:147], v[90:91], v[76:77]
	v_fma_f64 v[166:167], v[108:109], v[68:69], -v[80:81]
	global_load_dwordx4 v[80:83], v[150:151], off offset:304
	global_load_dwordx4 v[88:91], v[150:151], off offset:288
	v_fmac_f64_e32 v[142:143], v[102:103], v[72:73]
	v_fmac_f64_e32 v[168:169], v[110:111], v[68:69]
	s_waitcnt vmcnt(1) lgkmcnt(7)
	v_mul_f64 v[188:189], v[92:93], v[82:83]
	s_waitcnt vmcnt(0)
	v_mul_f64 v[100:101], v[98:99], v[90:91]
	v_fma_f64 v[182:183], v[96:97], v[88:89], -v[100:101]
	v_mul_f64 v[184:185], v[96:97], v[90:91]
	v_mul_f64 v[96:97], v[94:95], v[82:83]
	v_fmac_f64_e32 v[184:185], v[98:99], v[88:89]
	v_fma_f64 v[186:187], v[92:93], v[80:81], -v[96:97]
	v_fmac_f64_e32 v[188:189], v[94:95], v[80:81]
	global_load_dwordx4 v[92:95], v[174:175], off offset:272
	global_load_dwordx4 v[96:99], v[174:175], off offset:256
	;; [unrolled: 1-line block ×4, first 2 shown]
	s_waitcnt vmcnt(3) lgkmcnt(2)
	v_mul_f64 v[160:161], v[104:105], v[94:95]
	s_waitcnt vmcnt(2)
	v_mul_f64 v[152:153], v[112:113], v[98:99]
	s_waitcnt vmcnt(1)
	;; [unrolled: 2-line block ×3, first 2 shown]
	v_mul_f64 v[150:151], v[138:139], v[110:111]
	v_fma_f64 v[162:163], v[136:137], v[108:109], -v[150:151]
	v_mul_f64 v[164:165], v[136:137], v[110:111]
	v_mul_f64 v[136:137], v[134:135], v[102:103]
	v_fma_f64 v[154:155], v[132:133], v[100:101], -v[136:137]
	v_mul_f64 v[132:133], v[114:115], v[98:99]
	v_fma_f64 v[150:151], v[112:113], v[96:97], -v[132:133]
	v_mul_f64 v[112:113], v[106:107], v[94:95]
	v_fmac_f64_e32 v[152:153], v[114:115], v[96:97]
	v_fma_f64 v[158:159], v[104:105], v[92:93], -v[112:113]
	v_fmac_f64_e32 v[160:161], v[106:107], v[92:93]
	global_load_dwordx4 v[104:107], v[174:175], off offset:304
	global_load_dwordx4 v[112:115], v[174:175], off offset:288
	v_fmac_f64_e32 v[156:157], v[134:135], v[100:101]
	v_add_f64 v[134:135], v[146:147], v[184:185]
	v_add_f64 v[136:137], v[144:145], -v[182:183]
	v_fmac_f64_e32 v[164:165], v[138:139], v[108:109]
	v_add_f64 v[138:139], v[146:147], -v[184:185]
	v_add_f64 v[146:147], v[142:143], v[168:169]
	v_add_f64 v[142:143], v[168:169], -v[142:143]
	v_add_f64 v[184:185], v[142:143], v[138:139]
	s_waitcnt lgkmcnt(0)
	; wave barrier
	s_waitcnt vmcnt(1) lgkmcnt(0)
	v_mul_f64 v[180:181], v[124:125], v[106:107]
	s_waitcnt vmcnt(0)
	v_mul_f64 v[132:133], v[130:131], v[114:115]
	v_fma_f64 v[174:175], v[128:129], v[112:113], -v[132:133]
	v_mul_f64 v[176:177], v[128:129], v[114:115]
	v_mul_f64 v[128:129], v[126:127], v[106:107]
	v_fma_f64 v[178:179], v[124:125], v[104:105], -v[128:129]
	v_add_f64 v[124:125], v[170:171], v[186:187]
	v_add_f64 v[132:133], v[144:145], v[182:183]
	v_fmac_f64_e32 v[180:181], v[126:127], v[104:105]
	v_add_f64 v[126:127], v[172:173], v[188:189]
	v_add_f64 v[144:145], v[140:141], v[166:167]
	v_add_f64 v[140:141], v[166:167], -v[140:141]
	v_add_f64 v[166:167], v[132:133], v[124:125]
	v_add_f64 v[128:129], v[170:171], -v[186:187]
	v_add_f64 v[168:169], v[134:135], v[126:127]
	v_add_f64 v[170:171], v[132:133], -v[124:125]
	v_add_f64 v[124:125], v[124:125], -v[144:145]
	v_add_f64 v[132:133], v[144:145], -v[132:133]
	v_add_f64 v[144:145], v[144:145], v[166:167]
	v_fmac_f64_e32 v[176:177], v[130:131], v[112:113]
	v_add_f64 v[130:131], v[172:173], -v[188:189]
	v_add_f64 v[172:173], v[134:135], -v[126:127]
	;; [unrolled: 1-line block ×4, first 2 shown]
	v_add_f64 v[146:147], v[146:147], v[168:169]
	v_add_f64 v[120:121], v[120:121], v[144:145]
	;; [unrolled: 1-line block ×3, first 2 shown]
	v_add_f64 v[186:187], v[140:141], -v[136:137]
	v_add_f64 v[188:189], v[142:143], -v[138:139]
	v_add_f64 v[122:123], v[122:123], v[146:147]
	v_mov_b64_e32 v[192:193], v[120:121]
	v_add_f64 v[140:141], v[128:129], -v[140:141]
	v_add_f64 v[142:143], v[130:131], -v[142:143]
	;; [unrolled: 1-line block ×4, first 2 shown]
	v_add_f64 v[128:129], v[182:183], v[128:129]
	v_add_f64 v[130:131], v[184:185], v[130:131]
	v_mul_f64 v[124:125], v[124:125], s[6:7]
	v_mul_f64 v[166:167], v[132:133], s[2:3]
	;; [unrolled: 1-line block ×5, first 2 shown]
	v_fmac_f64_e32 v[192:193], s[10:11], v[144:145]
	v_mov_b64_e32 v[144:145], v[122:123]
	v_mul_f64 v[126:127], v[126:127], s[6:7]
	v_mul_f64 v[186:187], v[136:137], s[4:5]
	;; [unrolled: 1-line block ×3, first 2 shown]
	v_fmac_f64_e32 v[144:145], s[10:11], v[146:147]
	v_fma_f64 v[146:147], v[170:171], s[12:13], -v[166:167]
	v_fma_f64 v[166:167], v[172:173], s[12:13], -v[168:169]
	;; [unrolled: 1-line block ×5, first 2 shown]
	v_fmac_f64_e32 v[124:125], s[2:3], v[132:133]
	v_fma_f64 v[132:133], v[172:173], s[16:17], -v[126:127]
	v_fmac_f64_e32 v[126:127], s[2:3], v[134:135]
	v_fmac_f64_e32 v[182:183], s[14:15], v[140:141]
	;; [unrolled: 1-line block ×5, first 2 shown]
	v_add_f64 v[138:139], v[146:147], v[192:193]
	v_add_f64 v[140:141], v[166:167], v[144:145]
	v_fmac_f64_e32 v[170:171], s[18:19], v[128:129]
	v_fmac_f64_e32 v[136:137], s[18:19], v[130:131]
	v_add_f64 v[172:173], v[124:125], v[192:193]
	v_add_f64 v[194:195], v[126:127], v[144:145]
	;; [unrolled: 1-line block ×4, first 2 shown]
	v_fmac_f64_e32 v[184:185], s[18:19], v[130:131]
	v_fmac_f64_e32 v[186:187], s[18:19], v[128:129]
	;; [unrolled: 1-line block ×3, first 2 shown]
	v_add_f64 v[132:133], v[138:139], -v[136:137]
	v_add_f64 v[134:135], v[170:171], v[140:141]
	v_add_f64 v[136:137], v[136:137], v[138:139]
	v_add_f64 v[138:139], v[140:141], -v[170:171]
	v_add_f64 v[166:167], v[162:163], v[178:179]
	v_add_f64 v[170:171], v[154:155], v[174:175]
	v_fmac_f64_e32 v[182:183], s[18:19], v[128:129]
	v_add_f64 v[128:129], v[184:185], v[172:173]
	v_add_f64 v[124:125], v[188:189], v[142:143]
	v_add_f64 v[126:127], v[144:145], -v[186:187]
	v_add_f64 v[140:141], v[142:143], -v[188:189]
	v_add_f64 v[142:143], v[186:187], v[144:145]
	v_add_f64 v[144:145], v[172:173], -v[184:185]
	v_add_f64 v[168:169], v[164:165], v[180:181]
	v_add_f64 v[172:173], v[156:157], v[176:177]
	v_add_f64 v[154:155], v[154:155], -v[174:175]
	v_add_f64 v[174:175], v[150:151], v[158:159]
	v_add_f64 v[150:151], v[158:159], -v[150:151]
	;; [unrolled: 2-line block ×4, first 2 shown]
	v_add_f64 v[160:161], v[172:173], v[168:169]
	v_add_f64 v[158:159], v[174:175], v[158:159]
	v_add_f64 v[162:163], v[162:163], -v[178:179]
	v_add_f64 v[164:165], v[164:165], -v[180:181]
	v_add_f64 v[160:161], v[176:177], v[160:161]
	v_add_f64 v[116:117], v[116:117], v[158:159]
	v_add_f64 v[130:131], v[194:195], -v[182:183]
	v_add_f64 v[146:147], v[182:183], v[194:195]
	v_add_f64 v[178:179], v[170:171], -v[166:167]
	v_add_f64 v[180:181], v[172:173], -v[168:169]
	;; [unrolled: 1-line block ×6, first 2 shown]
	v_add_f64 v[182:183], v[150:151], v[154:155]
	v_add_f64 v[184:185], v[152:153], v[156:157]
	v_add_f64 v[186:187], v[150:151], -v[154:155]
	v_add_f64 v[188:189], v[152:153], -v[156:157]
	v_add_f64 v[154:155], v[154:155], -v[162:163]
	v_add_f64 v[156:157], v[156:157], -v[164:165]
	v_add_f64 v[118:119], v[118:119], v[160:161]
	v_mov_b64_e32 v[192:193], v[116:117]
	v_add_f64 v[150:151], v[162:163], -v[150:151]
	v_add_f64 v[152:153], v[164:165], -v[152:153]
	v_add_f64 v[162:163], v[182:183], v[162:163]
	v_add_f64 v[164:165], v[184:185], v[164:165]
	v_mul_f64 v[166:167], v[166:167], s[6:7]
	v_mul_f64 v[168:169], v[168:169], s[6:7]
	;; [unrolled: 1-line block ×8, first 2 shown]
	v_fmac_f64_e32 v[192:193], s[10:11], v[158:159]
	v_mov_b64_e32 v[158:159], v[118:119]
	v_fmac_f64_e32 v[158:159], s[10:11], v[160:161]
	v_fma_f64 v[160:161], v[178:179], s[12:13], -v[174:175]
	v_fma_f64 v[174:175], v[180:181], s[12:13], -v[176:177]
	;; [unrolled: 1-line block ×3, first 2 shown]
	v_fmac_f64_e32 v[166:167], s[2:3], v[170:171]
	v_fma_f64 v[170:171], v[180:181], s[16:17], -v[168:169]
	v_fmac_f64_e32 v[168:169], s[2:3], v[172:173]
	v_fma_f64 v[172:173], v[154:155], s[22:23], -v[182:183]
	;; [unrolled: 2-line block ×3, first 2 shown]
	v_fmac_f64_e32 v[184:185], s[14:15], v[152:153]
	v_fmac_f64_e32 v[186:187], s[20:21], v[150:151]
	;; [unrolled: 1-line block ×3, first 2 shown]
	v_add_f64 v[180:181], v[166:167], v[192:193]
	v_add_f64 v[194:195], v[168:169], v[158:159]
	;; [unrolled: 1-line block ×6, first 2 shown]
	v_fmac_f64_e32 v[182:183], s[18:19], v[162:163]
	v_fmac_f64_e32 v[184:185], s[18:19], v[164:165]
	;; [unrolled: 1-line block ×6, first 2 shown]
	v_add_f64 v[150:151], v[184:185], v[180:181]
	v_add_f64 v[152:153], v[194:195], -v[182:183]
	v_add_f64 v[156:157], v[170:171], -v[186:187]
	;; [unrolled: 1-line block ×3, first 2 shown]
	v_add_f64 v[160:161], v[172:173], v[168:169]
	v_add_f64 v[162:163], v[178:179], v[166:167]
	v_add_f64 v[164:165], v[168:169], -v[172:173]
	v_add_f64 v[166:167], v[174:175], -v[188:189]
	v_add_f64 v[168:169], v[186:187], v[170:171]
	v_add_f64 v[170:171], v[180:181], -v[184:185]
	v_add_f64 v[172:173], v[182:183], v[194:195]
	v_add_f64 v[154:155], v[188:189], v[174:175]
	ds_write_b128 v16, v[120:123]
	ds_write_b128 v16, v[128:131] offset:256
	ds_write_b128 v16, v[124:127] offset:512
	;; [unrolled: 1-line block ×6, first 2 shown]
	ds_write_b128 v12, v[116:119]
	ds_write_b128 v12, v[150:153] offset:256
	ds_write_b128 v12, v[154:157] offset:512
	;; [unrolled: 1-line block ×6, first 2 shown]
	s_waitcnt lgkmcnt(0)
	; wave barrier
	s_waitcnt lgkmcnt(0)
	ds_read_b128 v[168:171], v196
	ds_read_b128 v[128:131], v196 offset:1792
	ds_read_b128 v[136:139], v196 offset:3584
	;; [unrolled: 1-line block ×13, first 2 shown]
	global_load_dwordx4 v[116:119], v[148:149], off offset:1808
	global_load_dwordx4 v[120:123], v[148:149], off offset:1792
	;; [unrolled: 1-line block ×4, first 2 shown]
	v_lshl_add_u64 v[178:179], v[148:149], 0, s[28:29]
	s_waitcnt vmcnt(3) lgkmcnt(9)
	v_mul_f64 v[194:195], v[202:203], v[118:119]
	s_waitcnt vmcnt(2)
	v_mul_f64 v[190:191], v[150:151], v[122:123]
	s_waitcnt vmcnt(1)
	v_mul_f64 v[228:229], v[136:137], v[126:127]
	s_waitcnt vmcnt(0)
	v_mul_f64 v[154:155], v[130:131], v[134:135]
	v_fma_f64 v[230:231], v[128:129], v[132:133], -v[154:155]
	v_mul_f64 v[232:233], v[128:129], v[134:135]
	v_mul_f64 v[128:129], v[138:139], v[126:127]
	v_fma_f64 v[226:227], v[136:137], v[124:125], -v[128:129]
	v_mul_f64 v[128:129], v[152:153], v[122:123]
	v_fma_f64 v[188:189], v[150:151], v[120:121], -v[128:129]
	v_mul_f64 v[128:129], v[204:205], v[118:119]
	v_fmac_f64_e32 v[232:233], v[130:131], v[132:133]
	v_fmac_f64_e32 v[228:229], v[138:139], v[124:125]
	v_fma_f64 v[192:193], v[202:203], v[116:117], -v[128:129]
	global_load_dwordx4 v[128:131], v[148:149], off offset:1840
	global_load_dwordx4 v[136:139], v[148:149], off offset:1824
	v_fmac_f64_e32 v[190:191], v[152:153], v[120:121]
	v_fmac_f64_e32 v[194:195], v[204:205], v[116:117]
	s_waitcnt vmcnt(1) lgkmcnt(7)
	v_mul_f64 v[176:177], v[140:141], v[130:131]
	s_waitcnt vmcnt(0)
	v_mul_f64 v[150:151], v[146:147], v[138:139]
	v_fma_f64 v[4:5], v[144:145], v[136:137], -v[150:151]
	v_mul_f64 v[0:1], v[144:145], v[138:139]
	v_mul_f64 v[144:145], v[142:143], v[130:131]
	v_fmac_f64_e32 v[0:1], v[146:147], v[136:137]
	v_fma_f64 v[2:3], v[140:141], v[128:129], -v[144:145]
	v_fmac_f64_e32 v[176:177], v[142:143], v[128:129]
	global_load_dwordx4 v[140:143], v[178:179], off offset:1808
	global_load_dwordx4 v[144:147], v[178:179], off offset:1792
	;; [unrolled: 1-line block ×4, first 2 shown]
	s_waitcnt vmcnt(3) lgkmcnt(2)
	v_mul_f64 v[212:213], v[156:157], v[142:143]
	s_waitcnt vmcnt(2)
	v_mul_f64 v[204:205], v[160:161], v[146:147]
	s_waitcnt vmcnt(1)
	;; [unrolled: 2-line block ×3, first 2 shown]
	v_mul_f64 v[202:203], v[186:187], v[154:155]
	v_fma_f64 v[214:215], v[184:185], v[152:153], -v[202:203]
	v_mul_f64 v[216:217], v[184:185], v[154:155]
	v_mul_f64 v[184:185], v[182:183], v[150:151]
	v_fma_f64 v[206:207], v[180:181], v[148:149], -v[184:185]
	v_mul_f64 v[180:181], v[162:163], v[146:147]
	v_fma_f64 v[202:203], v[160:161], v[144:145], -v[180:181]
	v_mul_f64 v[160:161], v[158:159], v[142:143]
	v_fmac_f64_e32 v[204:205], v[162:163], v[144:145]
	v_fma_f64 v[210:211], v[156:157], v[140:141], -v[160:161]
	v_fmac_f64_e32 v[212:213], v[158:159], v[140:141]
	global_load_dwordx4 v[156:159], v[178:179], off offset:1840
	global_load_dwordx4 v[160:163], v[178:179], off offset:1824
	v_add_f64 v[180:181], v[228:229], v[0:1]
	v_fmac_f64_e32 v[216:217], v[186:187], v[152:153]
	v_fmac_f64_e32 v[208:209], v[182:183], v[148:149]
	v_add_f64 v[182:183], v[188:189], v[192:193]
	v_add_f64 v[184:185], v[190:191], v[194:195]
	v_add_f64 v[186:187], v[192:193], -v[188:189]
	v_add_f64 v[188:189], v[194:195], -v[190:191]
	;; [unrolled: 1-line block ×4, first 2 shown]
	s_waitcnt vmcnt(1) lgkmcnt(0)
	v_mul_f64 v[224:225], v[172:173], v[158:159]
	s_waitcnt vmcnt(0)
	v_mul_f64 v[178:179], v[222:223], v[162:163]
	v_fma_f64 v[218:219], v[220:221], v[160:161], -v[178:179]
	v_mul_f64 v[220:221], v[220:221], v[162:163]
	v_mul_f64 v[178:179], v[174:175], v[158:159]
	v_fmac_f64_e32 v[220:221], v[222:223], v[160:161]
	v_fma_f64 v[222:223], v[172:173], v[156:157], -v[178:179]
	v_fmac_f64_e32 v[224:225], v[174:175], v[156:157]
	v_add_f64 v[172:173], v[230:231], v[2:3]
	v_add_f64 v[174:175], v[232:233], v[176:177]
	;; [unrolled: 1-line block ×5, first 2 shown]
	v_add_f64 v[4:5], v[226:227], -v[4:5]
	v_add_f64 v[226:227], v[178:179], -v[172:173]
	;; [unrolled: 1-line block ×7, first 2 shown]
	v_add_f64 v[182:183], v[182:183], v[190:191]
	v_add_f64 v[184:185], v[184:185], v[192:193]
	v_add_f64 v[2:3], v[230:231], -v[2:3]
	v_add_f64 v[176:177], v[232:233], -v[176:177]
	v_add_f64 v[194:195], v[186:187], v[4:5]
	v_add_f64 v[230:231], v[188:189], v[0:1]
	v_add_f64 v[232:233], v[186:187], -v[4:5]
	v_add_f64 v[168:169], v[168:169], v[182:183]
	v_add_f64 v[170:171], v[170:171], v[184:185]
	v_add_f64 v[186:187], v[2:3], -v[186:187]
	v_add_f64 v[10:11], v[176:177], -v[188:189]
	;; [unrolled: 1-line block ×4, first 2 shown]
	v_add_f64 v[2:3], v[194:195], v[2:3]
	v_add_f64 v[176:177], v[230:231], v[176:177]
	v_mul_f64 v[230:231], v[178:179], s[2:3]
	v_mul_f64 v[0:1], v[180:181], s[2:3]
	;; [unrolled: 1-line block ×4, first 2 shown]
	v_mov_b64_e32 v[6:7], v[168:169]
	v_mov_b64_e32 v[18:19], v[170:171]
	v_mul_f64 v[172:173], v[172:173], s[6:7]
	v_mul_f64 v[174:175], v[174:175], s[6:7]
	;; [unrolled: 1-line block ×4, first 2 shown]
	v_fmac_f64_e32 v[6:7], s[10:11], v[182:183]
	v_fmac_f64_e32 v[18:19], s[10:11], v[184:185]
	v_fma_f64 v[182:183], v[226:227], s[12:13], -v[230:231]
	v_fma_f64 v[0:1], v[228:229], s[12:13], -v[0:1]
	;; [unrolled: 1-line block ×5, first 2 shown]
	v_fmac_f64_e32 v[172:173], s[2:3], v[178:179]
	v_fma_f64 v[178:179], v[228:229], s[16:17], -v[174:175]
	v_fmac_f64_e32 v[174:175], s[2:3], v[180:181]
	v_fmac_f64_e32 v[194:195], s[14:15], v[186:187]
	;; [unrolled: 1-line block ×4, first 2 shown]
	v_add_f64 v[186:187], v[182:183], v[6:7]
	v_add_f64 v[0:1], v[0:1], v[18:19]
	v_fmac_f64_e32 v[4:5], s[18:19], v[2:3]
	v_fmac_f64_e32 v[8:9], s[18:19], v[176:177]
	;; [unrolled: 1-line block ×3, first 2 shown]
	v_add_f64 v[10:11], v[172:173], v[6:7]
	v_add_f64 v[226:227], v[174:175], v[18:19]
	;; [unrolled: 1-line block ×4, first 2 shown]
	v_fmac_f64_e32 v[192:193], s[18:19], v[176:177]
	v_fmac_f64_e32 v[190:191], s[18:19], v[2:3]
	v_add_f64 v[180:181], v[186:187], -v[8:9]
	v_add_f64 v[182:183], v[4:5], v[0:1]
	v_add_f64 v[184:185], v[8:9], v[186:187]
	v_add_f64 v[186:187], v[0:1], -v[4:5]
	v_add_f64 v[0:1], v[214:215], v[222:223]
	v_add_f64 v[8:9], v[206:207], v[218:219]
	v_fmac_f64_e32 v[194:195], s[18:19], v[2:3]
	v_fmac_f64_e32 v[188:189], s[18:19], v[176:177]
	v_add_f64 v[176:177], v[192:193], v[10:11]
	v_add_f64 v[174:175], v[18:19], -v[190:191]
	v_add_f64 v[190:191], v[190:191], v[18:19]
	v_add_f64 v[192:193], v[10:11], -v[192:193]
	v_add_f64 v[2:3], v[216:217], v[224:225]
	v_add_f64 v[10:11], v[208:209], v[220:221]
	v_add_f64 v[18:19], v[206:207], -v[218:219]
	v_add_f64 v[206:207], v[208:209], -v[220:221]
	v_add_f64 v[208:209], v[202:203], v[210:211]
	v_add_f64 v[202:203], v[210:211], -v[202:203]
	v_add_f64 v[210:211], v[8:9], v[0:1]
	;; [unrolled: 2-line block ×4, first 2 shown]
	v_add_f64 v[210:211], v[208:209], v[210:211]
	v_add_f64 v[172:173], v[188:189], v[6:7]
	v_add_f64 v[188:189], v[6:7], -v[188:189]
	v_add_f64 v[6:7], v[216:217], -v[224:225]
	v_add_f64 v[222:223], v[204:205], v[206:207]
	v_add_f64 v[212:213], v[214:215], v[212:213]
	;; [unrolled: 1-line block ×3, first 2 shown]
	v_add_f64 v[178:179], v[226:227], -v[194:195]
	v_add_f64 v[194:195], v[194:195], v[226:227]
	v_add_f64 v[216:217], v[8:9], -v[0:1]
	v_add_f64 v[218:219], v[10:11], -v[2:3]
	;; [unrolled: 1-line block ×6, first 2 shown]
	v_add_f64 v[220:221], v[202:203], v[18:19]
	v_add_f64 v[224:225], v[202:203], -v[18:19]
	v_add_f64 v[226:227], v[204:205], -v[206:207]
	;; [unrolled: 1-line block ×5, first 2 shown]
	v_add_f64 v[6:7], v[222:223], v[6:7]
	v_add_f64 v[166:167], v[166:167], v[212:213]
	v_mov_b64_e32 v[222:223], v[164:165]
	v_add_f64 v[228:229], v[4:5], -v[202:203]
	v_add_f64 v[4:5], v[220:221], v[4:5]
	v_mul_f64 v[0:1], v[0:1], s[6:7]
	v_mul_f64 v[2:3], v[2:3], s[6:7]
	;; [unrolled: 1-line block ×8, first 2 shown]
	v_fmac_f64_e32 v[222:223], s[10:11], v[210:211]
	v_mov_b64_e32 v[210:211], v[166:167]
	v_fmac_f64_e32 v[210:211], s[10:11], v[212:213]
	v_fma_f64 v[212:213], v[216:217], s[12:13], -v[214:215]
	v_fma_f64 v[214:215], v[218:219], s[12:13], -v[220:221]
	;; [unrolled: 1-line block ×3, first 2 shown]
	v_fmac_f64_e32 v[0:1], s[2:3], v[8:9]
	v_fma_f64 v[8:9], v[218:219], s[16:17], -v[2:3]
	v_fmac_f64_e32 v[2:3], s[2:3], v[10:11]
	v_fma_f64 v[10:11], v[18:19], s[22:23], -v[202:203]
	;; [unrolled: 2-line block ×3, first 2 shown]
	v_fmac_f64_e32 v[204:205], s[14:15], v[230:231]
	v_fmac_f64_e32 v[206:207], s[20:21], v[228:229]
	;; [unrolled: 1-line block ×3, first 2 shown]
	v_add_f64 v[0:1], v[0:1], v[222:223]
	v_add_f64 v[2:3], v[2:3], v[210:211]
	;; [unrolled: 1-line block ×6, first 2 shown]
	v_fmac_f64_e32 v[202:203], s[18:19], v[4:5]
	v_fmac_f64_e32 v[204:205], s[18:19], v[6:7]
	;; [unrolled: 1-line block ×6, first 2 shown]
	v_add_f64 v[210:211], v[204:205], v[0:1]
	v_add_f64 v[212:213], v[2:3], -v[202:203]
	v_add_f64 v[214:215], v[208:209], v[228:229]
	v_add_f64 v[216:217], v[8:9], -v[206:207]
	v_add_f64 v[218:219], v[224:225], -v[18:19]
	v_add_f64 v[220:221], v[10:11], v[226:227]
	v_add_f64 v[222:223], v[18:19], v[224:225]
	v_add_f64 v[224:225], v[226:227], -v[10:11]
	v_add_f64 v[226:227], v[228:229], -v[208:209]
	v_add_f64 v[228:229], v[206:207], v[8:9]
	v_add_f64 v[204:205], v[0:1], -v[204:205]
	v_add_f64 v[206:207], v[202:203], v[2:3]
	ds_write_b128 v196, v[168:171]
	ds_write_b128 v196, v[176:179] offset:1792
	ds_write_b128 v196, v[172:175] offset:3584
	;; [unrolled: 1-line block ×13, first 2 shown]
	s_waitcnt lgkmcnt(0)
	; wave barrier
	s_waitcnt lgkmcnt(0)
	ds_read_b128 v[164:167], v196
	global_load_dwordx4 v[168:171], v196, s[24:25]
	v_lshl_add_u64 v[0:1], s[24:25], 0, v[196:197]
	s_mov_b32 s9, 0x3fe11646
	s_mov_b32 s19, 0xbfdc38aa
	s_waitcnt vmcnt(0) lgkmcnt(0)
	v_mul_f64 v[2:3], v[166:167], v[170:171]
	v_mul_f64 v[174:175], v[164:165], v[170:171]
	v_add_co_u32_e32 v170, vcc, s26, v0
	v_fma_f64 v[172:173], v[164:165], v[168:169], -v[2:3]
	v_fmac_f64_e32 v[174:175], v[166:167], v[168:169]
	v_addc_co_u32_e32 v171, vcc, 0, v1, vcc
	ds_write_b128 v196, v[172:175]
	global_load_dwordx4 v[172:175], v[170:171], off offset:2176
	ds_read_b128 v[164:167], v196 offset:6272
	v_add_co_u32_e32 v168, vcc, s27, v0
	s_waitcnt vmcnt(0) lgkmcnt(0)
	v_mul_f64 v[2:3], v[166:167], v[174:175]
	v_mul_f64 v[178:179], v[164:165], v[174:175]
	v_fma_f64 v[176:177], v[164:165], v[172:173], -v[2:3]
	v_fmac_f64_e32 v[178:179], v[166:167], v[172:173]
	ds_read_b128 v[164:167], v196 offset:896
	global_load_dwordx4 v[172:175], v196, s[24:25] offset:896
	ds_write_b128 v196, v[176:179] offset:6272
	v_addc_co_u32_e32 v169, vcc, 0, v1, vcc
	s_waitcnt vmcnt(0) lgkmcnt(1)
	v_mul_f64 v[2:3], v[166:167], v[174:175]
	v_fma_f64 v[176:177], v[164:165], v[172:173], -v[2:3]
	v_mul_f64 v[178:179], v[164:165], v[174:175]
	v_accvgpr_read_b32 v2, a27
	v_fmac_f64_e32 v[178:179], v[166:167], v[172:173]
	global_load_dwordx4 v[172:175], v2, s[24:25]
	ds_read_b128 v[164:167], v196 offset:7168
	ds_write_b128 v196, v[176:179] offset:896
	s_waitcnt vmcnt(0) lgkmcnt(1)
	v_mul_f64 v[2:3], v[166:167], v[174:175]
	v_mul_f64 v[178:179], v[164:165], v[174:175]
	v_fma_f64 v[176:177], v[164:165], v[172:173], -v[2:3]
	v_fmac_f64_e32 v[178:179], v[166:167], v[172:173]
	ds_read_b128 v[164:167], v196 offset:1792
	global_load_dwordx4 v[172:175], v196, s[24:25] offset:1792
	ds_write_b128 v196, v[176:179] offset:7168
	s_waitcnt vmcnt(0) lgkmcnt(1)
	v_mul_f64 v[2:3], v[166:167], v[174:175]
	v_mul_f64 v[178:179], v[164:165], v[174:175]
	v_fma_f64 v[176:177], v[164:165], v[172:173], -v[2:3]
	v_fmac_f64_e32 v[178:179], v[166:167], v[172:173]
	global_load_dwordx4 v[172:175], v[170:171], off offset:3968
	ds_read_b128 v[164:167], v196 offset:8064
	ds_write_b128 v196, v[176:179] offset:1792
	s_waitcnt vmcnt(0) lgkmcnt(1)
	v_mul_f64 v[2:3], v[166:167], v[174:175]
	v_mul_f64 v[178:179], v[164:165], v[174:175]
	v_fma_f64 v[176:177], v[164:165], v[172:173], -v[2:3]
	v_fmac_f64_e32 v[178:179], v[166:167], v[172:173]
	ds_read_b128 v[164:167], v196 offset:2688
	global_load_dwordx4 v[172:175], v196, s[24:25] offset:2688
	ds_write_b128 v196, v[176:179] offset:8064
	s_waitcnt vmcnt(0) lgkmcnt(1)
	v_mul_f64 v[2:3], v[166:167], v[174:175]
	v_mul_f64 v[178:179], v[164:165], v[174:175]
	v_fma_f64 v[176:177], v[164:165], v[172:173], -v[2:3]
	v_fmac_f64_e32 v[178:179], v[166:167], v[172:173]
	global_load_dwordx4 v[172:175], v[168:169], off offset:768
	;; [unrolled: 16-line block ×3, first 2 shown]
	ds_read_b128 v[164:167], v196 offset:9856
	ds_write_b128 v196, v[176:179] offset:3584
	s_waitcnt vmcnt(0) lgkmcnt(1)
	v_mul_f64 v[0:1], v[166:167], v[174:175]
	v_mul_f64 v[178:179], v[164:165], v[174:175]
	v_fma_f64 v[176:177], v[164:165], v[172:173], -v[0:1]
	v_fmac_f64_e32 v[178:179], v[166:167], v[172:173]
	global_load_dwordx4 v[172:175], v[170:171], off offset:384
	ds_read_b128 v[164:167], v196 offset:4480
	ds_write_b128 v196, v[176:179] offset:9856
	s_waitcnt vmcnt(0) lgkmcnt(1)
	v_mul_f64 v[0:1], v[166:167], v[174:175]
	v_mul_f64 v[178:179], v[164:165], v[174:175]
	v_fma_f64 v[176:177], v[164:165], v[172:173], -v[0:1]
	v_fmac_f64_e32 v[178:179], v[166:167], v[172:173]
	global_load_dwordx4 v[172:175], v[168:169], off offset:2560
	;; [unrolled: 8-line block ×4, first 2 shown]
	ds_read_b128 v[164:167], v196 offset:11648
	ds_write_b128 v196, v[174:177] offset:5376
	s_waitcnt vmcnt(0) lgkmcnt(1)
	v_mul_f64 v[0:1], v[166:167], v[170:171]
	v_mul_f64 v[174:175], v[164:165], v[170:171]
	v_fma_f64 v[172:173], v[164:165], v[168:169], -v[0:1]
	v_fmac_f64_e32 v[174:175], v[166:167], v[168:169]
	ds_write_b128 v196, v[172:175] offset:11648
	s_waitcnt lgkmcnt(0)
	; wave barrier
	s_waitcnt lgkmcnt(0)
	ds_read_b128 v[164:167], v196
	ds_read_b128 v[168:171], v196 offset:6272
	ds_read_b128 v[172:175], v196 offset:896
	;; [unrolled: 1-line block ×13, first 2 shown]
	s_waitcnt lgkmcnt(12)
	v_add_f64 v[226:227], v[164:165], -v[168:169]
	v_add_f64 v[228:229], v[166:167], -v[170:171]
	v_fma_f64 v[230:231], v[164:165], 2.0, -v[226:227]
	v_fma_f64 v[232:233], v[166:167], 2.0, -v[228:229]
	s_waitcnt lgkmcnt(10)
	v_add_f64 v[176:177], v[172:173], -v[176:177]
	v_add_f64 v[178:179], v[174:175], -v[178:179]
	s_waitcnt lgkmcnt(8)
	v_add_f64 v[184:185], v[180:181], -v[184:185]
	v_add_f64 v[186:187], v[182:183], -v[186:187]
	v_accvgpr_read_b32 v0, a24
	v_fma_f64 v[172:173], v[172:173], 2.0, -v[176:177]
	v_fma_f64 v[174:175], v[174:175], 2.0, -v[178:179]
	;; [unrolled: 1-line block ×4, first 2 shown]
	s_waitcnt lgkmcnt(6)
	v_add_f64 v[192:193], v[188:189], -v[192:193]
	v_add_f64 v[194:195], v[190:191], -v[194:195]
	s_waitcnt lgkmcnt(0)
	; wave barrier
	s_waitcnt lgkmcnt(0)
	ds_write_b128 v14, v[230:233]
	ds_write_b128 v14, v[226:229] offset:16
	ds_write_b128 v14, v[172:175] offset:1792
	;; [unrolled: 1-line block ×4, first 2 shown]
	v_accvgpr_read_b32 v0, a21
	v_fma_f64 v[188:189], v[188:189], 2.0, -v[192:193]
	v_fma_f64 v[190:191], v[190:191], 2.0, -v[194:195]
	v_add_f64 v[206:207], v[202:203], -v[206:207]
	v_add_f64 v[208:209], v[204:205], -v[208:209]
	ds_write_b128 v0, v[184:187] offset:16
	ds_write_b128 v239, v[188:191] offset:5376
	v_accvgpr_read_b32 v0, a17
	v_fma_f64 v[202:203], v[202:203], 2.0, -v[206:207]
	v_fma_f64 v[204:205], v[204:205], 2.0, -v[208:209]
	v_add_f64 v[214:215], v[210:211], -v[214:215]
	v_add_f64 v[216:217], v[212:213], -v[216:217]
	ds_write_b128 v0, v[192:195] offset:16
	ds_write_b128 v239, v[202:205] offset:7168
	;; [unrolled: 7-line block ×3, first 2 shown]
	v_accvgpr_read_b32 v0, a13
	v_fma_f64 v[168:169], v[218:219], 2.0, -v[164:165]
	v_fma_f64 v[170:171], v[220:221], 2.0, -v[166:167]
	ds_write_b128 v0, v[214:217] offset:16
	ds_write_b128 v239, v[168:171] offset:10752
	v_accvgpr_read_b32 v0, a12
	ds_write_b128 v0, v[164:167] offset:16
	s_waitcnt lgkmcnt(0)
	; wave barrier
	s_waitcnt lgkmcnt(0)
	ds_read_b128 v[164:167], v196
	ds_read_b128 v[168:171], v196 offset:6272
	ds_read_b128 v[172:175], v196 offset:896
	;; [unrolled: 1-line block ×13, first 2 shown]
	s_waitcnt lgkmcnt(12)
	v_mul_f64 v[0:1], v[62:63], v[170:171]
	s_waitcnt lgkmcnt(6)
	v_mul_f64 v[18:19], v[62:63], v[194:195]
	v_fmac_f64_e32 v[0:1], v[60:61], v[168:169]
	v_mul_f64 v[2:3], v[62:63], v[168:169]
	v_mul_f64 v[10:11], v[62:63], v[184:185]
	v_fmac_f64_e32 v[18:19], v[60:61], v[192:193]
	v_mul_f64 v[168:169], v[62:63], v[192:193]
	s_waitcnt lgkmcnt(4)
	v_mul_f64 v[192:193], v[62:63], v[208:209]
	v_mul_f64 v[8:9], v[62:63], v[186:187]
	v_fma_f64 v[10:11], v[60:61], v[186:187], -v[10:11]
	v_fma_f64 v[186:187], v[60:61], v[194:195], -v[168:169]
	v_fmac_f64_e32 v[192:193], v[60:61], v[206:207]
	v_mul_f64 v[168:169], v[62:63], v[206:207]
	s_waitcnt lgkmcnt(2)
	v_mul_f64 v[206:207], v[62:63], v[216:217]
	v_fma_f64 v[2:3], v[60:61], v[170:171], -v[2:3]
	v_mul_f64 v[4:5], v[62:63], v[178:179]
	v_mul_f64 v[6:7], v[62:63], v[176:177]
	v_fma_f64 v[194:195], v[60:61], v[208:209], -v[168:169]
	v_fmac_f64_e32 v[206:207], v[60:61], v[214:215]
	v_mul_f64 v[168:169], v[62:63], v[214:215]
	s_waitcnt lgkmcnt(0)
	v_mul_f64 v[214:215], v[62:63], v[224:225]
	v_mul_f64 v[62:63], v[62:63], v[222:223]
	v_fmac_f64_e32 v[4:5], v[60:61], v[176:177]
	v_fma_f64 v[6:7], v[60:61], v[178:179], -v[6:7]
	v_fmac_f64_e32 v[8:9], v[60:61], v[184:185]
	v_fma_f64 v[208:209], v[60:61], v[216:217], -v[168:169]
	;; [unrolled: 2-line block ×3, first 2 shown]
	v_add_f64 v[60:61], v[164:165], -v[0:1]
	v_add_f64 v[62:63], v[166:167], -v[2:3]
	v_fma_f64 v[164:165], v[164:165], 2.0, -v[60:61]
	v_fma_f64 v[166:167], v[166:167], 2.0, -v[62:63]
	v_add_f64 v[168:169], v[172:173], -v[4:5]
	v_add_f64 v[170:171], v[174:175], -v[6:7]
	v_accvgpr_read_b32 v0, a15
	v_fma_f64 v[172:173], v[172:173], 2.0, -v[168:169]
	v_fma_f64 v[174:175], v[174:175], 2.0, -v[170:171]
	v_add_f64 v[176:177], v[180:181], -v[8:9]
	v_add_f64 v[178:179], v[182:183], -v[10:11]
	s_waitcnt lgkmcnt(0)
	; wave barrier
	ds_write_b128 v0, v[164:167]
	ds_write_b128 v0, v[60:63] offset:32
	v_accvgpr_read_b32 v0, a11
	v_fma_f64 v[180:181], v[180:181], 2.0, -v[176:177]
	v_fma_f64 v[182:183], v[182:183], 2.0, -v[178:179]
	v_add_f64 v[184:185], v[188:189], -v[18:19]
	v_add_f64 v[186:187], v[190:191], -v[186:187]
	ds_write_b128 v0, v[172:175]
	ds_write_b128 v0, v[168:171] offset:32
	v_accvgpr_read_b32 v0, a10
	v_fma_f64 v[188:189], v[188:189], 2.0, -v[184:185]
	v_fma_f64 v[190:191], v[190:191], 2.0, -v[186:187]
	v_add_f64 v[192:193], v[202:203], -v[192:193]
	v_add_f64 v[194:195], v[204:205], -v[194:195]
	;; [unrolled: 7-line block ×3, first 2 shown]
	v_add_f64 v[214:215], v[218:219], -v[214:215]
	v_add_f64 v[216:217], v[220:221], -v[216:217]
	ds_write_b128 v0, v[188:191]
	ds_write_b128 v0, v[184:187] offset:32
	v_accvgpr_read_b32 v0, a8
	v_fma_f64 v[210:211], v[210:211], 2.0, -v[206:207]
	v_fma_f64 v[212:213], v[212:213], 2.0, -v[208:209]
	;; [unrolled: 1-line block ×4, first 2 shown]
	ds_write_b128 v0, v[202:205]
	ds_write_b128 v0, v[192:195] offset:32
	v_accvgpr_read_b32 v0, a7
	ds_write_b128 v0, v[210:213]
	ds_write_b128 v0, v[206:209] offset:32
	ds_write_b128 v17, v[218:221]
	ds_write_b128 v17, v[214:217] offset:32
	s_waitcnt lgkmcnt(0)
	; wave barrier
	s_waitcnt lgkmcnt(0)
	ds_read_b128 v[60:63], v196
	ds_read_b128 v[164:167], v196 offset:6272
	ds_read_b128 v[168:171], v196 offset:896
	;; [unrolled: 1-line block ×13, first 2 shown]
	s_waitcnt lgkmcnt(12)
	v_mul_f64 v[0:1], v[58:59], v[166:167]
	s_waitcnt lgkmcnt(6)
	v_mul_f64 v[18:19], v[58:59], v[190:191]
	v_fmac_f64_e32 v[0:1], v[56:57], v[164:165]
	v_mul_f64 v[2:3], v[58:59], v[164:165]
	v_mul_f64 v[10:11], v[58:59], v[180:181]
	v_fmac_f64_e32 v[18:19], v[56:57], v[188:189]
	v_mul_f64 v[164:165], v[58:59], v[188:189]
	s_waitcnt lgkmcnt(4)
	v_mul_f64 v[188:189], v[58:59], v[204:205]
	v_mul_f64 v[8:9], v[58:59], v[182:183]
	v_fma_f64 v[10:11], v[56:57], v[182:183], -v[10:11]
	v_fma_f64 v[182:183], v[56:57], v[190:191], -v[164:165]
	v_fmac_f64_e32 v[188:189], v[56:57], v[202:203]
	v_mul_f64 v[164:165], v[58:59], v[202:203]
	s_waitcnt lgkmcnt(2)
	v_mul_f64 v[202:203], v[58:59], v[212:213]
	v_fma_f64 v[2:3], v[56:57], v[166:167], -v[2:3]
	v_mul_f64 v[4:5], v[58:59], v[174:175]
	v_mul_f64 v[6:7], v[58:59], v[172:173]
	v_fma_f64 v[190:191], v[56:57], v[204:205], -v[164:165]
	v_fmac_f64_e32 v[202:203], v[56:57], v[210:211]
	v_mul_f64 v[164:165], v[58:59], v[210:211]
	s_waitcnt lgkmcnt(0)
	v_mul_f64 v[210:211], v[58:59], v[220:221]
	v_mul_f64 v[58:59], v[58:59], v[218:219]
	v_fmac_f64_e32 v[4:5], v[56:57], v[172:173]
	v_fma_f64 v[6:7], v[56:57], v[174:175], -v[6:7]
	v_fmac_f64_e32 v[8:9], v[56:57], v[180:181]
	v_fma_f64 v[204:205], v[56:57], v[212:213], -v[164:165]
	v_fmac_f64_e32 v[210:211], v[56:57], v[218:219]
	v_fma_f64 v[212:213], v[56:57], v[220:221], -v[58:59]
	v_add_f64 v[56:57], v[60:61], -v[0:1]
	v_add_f64 v[58:59], v[62:63], -v[2:3]
	v_fma_f64 v[60:61], v[60:61], 2.0, -v[56:57]
	v_fma_f64 v[62:63], v[62:63], 2.0, -v[58:59]
	v_add_f64 v[164:165], v[168:169], -v[4:5]
	v_add_f64 v[166:167], v[170:171], -v[6:7]
	;; [unrolled: 1-line block ×4, first 2 shown]
	v_accvgpr_read_b32 v0, a23
	v_fma_f64 v[168:169], v[168:169], 2.0, -v[164:165]
	v_fma_f64 v[170:171], v[170:171], 2.0, -v[166:167]
	;; [unrolled: 1-line block ×4, first 2 shown]
	v_add_f64 v[180:181], v[184:185], -v[18:19]
	v_add_f64 v[182:183], v[186:187], -v[182:183]
	s_waitcnt lgkmcnt(0)
	; wave barrier
	ds_write_b128 v0, v[60:63]
	ds_write_b128 v0, v[56:59] offset:64
	ds_write_b128 v13, v[168:171]
	ds_write_b128 v13, v[164:167] offset:64
	v_accvgpr_read_b32 v0, a22
	v_fma_f64 v[184:185], v[184:185], 2.0, -v[180:181]
	v_fma_f64 v[186:187], v[186:187], 2.0, -v[182:183]
	v_add_f64 v[188:189], v[192:193], -v[188:189]
	v_add_f64 v[190:191], v[194:195], -v[190:191]
	ds_write_b128 v0, v[176:179]
	ds_write_b128 v0, v[172:175] offset:64
	v_accvgpr_read_b32 v0, a20
	v_fma_f64 v[192:193], v[192:193], 2.0, -v[188:189]
	v_fma_f64 v[194:195], v[194:195], 2.0, -v[190:191]
	v_add_f64 v[202:203], v[206:207], -v[202:203]
	v_add_f64 v[204:205], v[208:209], -v[204:205]
	;; [unrolled: 7-line block ×3, first 2 shown]
	ds_write_b128 v0, v[192:195]
	ds_write_b128 v0, v[188:191] offset:64
	v_accvgpr_read_b32 v0, a18
	v_fma_f64 v[214:215], v[214:215], 2.0, -v[210:211]
	v_fma_f64 v[216:217], v[216:217], 2.0, -v[212:213]
	ds_write_b128 v0, v[206:209]
	ds_write_b128 v0, v[202:205] offset:64
	v_accvgpr_read_b32 v0, a16
	ds_write_b128 v0, v[214:217]
	ds_write_b128 v0, v[210:213] offset:64
	s_waitcnt lgkmcnt(0)
	; wave barrier
	s_waitcnt lgkmcnt(0)
	ds_read_b128 v[56:59], v196
	ds_read_b128 v[60:63], v196 offset:6272
	ds_read_b128 v[164:167], v196 offset:896
	;; [unrolled: 1-line block ×13, first 2 shown]
	s_waitcnt lgkmcnt(12)
	v_mul_f64 v[0:1], v[66:67], v[62:63]
	v_fmac_f64_e32 v[0:1], v[64:65], v[60:61]
	v_mul_f64 v[2:3], v[66:67], v[60:61]
	s_waitcnt lgkmcnt(8)
	v_mul_f64 v[10:11], v[66:67], v[176:177]
	s_waitcnt lgkmcnt(6)
	v_mul_f64 v[18:19], v[66:67], v[186:187]
	v_mul_f64 v[60:61], v[66:67], v[184:185]
	;; [unrolled: 1-line block ×3, first 2 shown]
	v_fma_f64 v[10:11], v[64:65], v[178:179], -v[10:11]
	v_fmac_f64_e32 v[18:19], v[64:65], v[184:185]
	v_fma_f64 v[178:179], v[64:65], v[186:187], -v[60:61]
	s_waitcnt lgkmcnt(4)
	v_mul_f64 v[184:185], v[66:67], v[194:195]
	v_mul_f64 v[60:61], v[66:67], v[192:193]
	v_fmac_f64_e32 v[184:185], v[64:65], v[192:193]
	v_fma_f64 v[186:187], v[64:65], v[194:195], -v[60:61]
	s_waitcnt lgkmcnt(2)
	v_mul_f64 v[192:193], v[66:67], v[208:209]
	v_mul_f64 v[60:61], v[66:67], v[206:207]
	v_fma_f64 v[2:3], v[64:65], v[62:63], -v[2:3]
	v_mul_f64 v[4:5], v[66:67], v[170:171]
	v_mul_f64 v[6:7], v[66:67], v[168:169]
	v_fmac_f64_e32 v[192:193], v[64:65], v[206:207]
	v_fma_f64 v[194:195], v[64:65], v[208:209], -v[60:61]
	s_waitcnt lgkmcnt(0)
	v_mul_f64 v[206:207], v[66:67], v[216:217]
	v_mul_f64 v[60:61], v[66:67], v[214:215]
	v_fmac_f64_e32 v[4:5], v[64:65], v[168:169]
	v_fma_f64 v[6:7], v[64:65], v[170:171], -v[6:7]
	v_fmac_f64_e32 v[8:9], v[64:65], v[176:177]
	v_fmac_f64_e32 v[206:207], v[64:65], v[214:215]
	v_fma_f64 v[208:209], v[64:65], v[216:217], -v[60:61]
	v_add_f64 v[60:61], v[56:57], -v[0:1]
	v_add_f64 v[62:63], v[58:59], -v[2:3]
	;; [unrolled: 1-line block ×4, first 2 shown]
	v_fma_f64 v[56:57], v[56:57], 2.0, -v[60:61]
	v_fma_f64 v[58:59], v[58:59], 2.0, -v[62:63]
	v_add_f64 v[64:65], v[164:165], -v[4:5]
	v_add_f64 v[66:67], v[166:167], -v[6:7]
	;; [unrolled: 1-line block ×6, first 2 shown]
	v_fma_f64 v[188:189], v[188:189], 2.0, -v[184:185]
	v_fma_f64 v[190:191], v[190:191], 2.0, -v[186:187]
	v_add_f64 v[192:193], v[202:203], -v[192:193]
	v_add_f64 v[194:195], v[204:205], -v[194:195]
	;; [unrolled: 1-line block ×4, first 2 shown]
	v_accvgpr_read_b32 v0, a26
	v_fma_f64 v[164:165], v[164:165], 2.0, -v[64:65]
	v_fma_f64 v[166:167], v[166:167], 2.0, -v[66:67]
	;; [unrolled: 1-line block ×10, first 2 shown]
	s_waitcnt lgkmcnt(0)
	; wave barrier
	ds_write_b128 v237, v[56:59]
	ds_write_b128 v237, v[60:63] offset:128
	ds_write_b128 v238, v[164:167]
	ds_write_b128 v238, v[64:67] offset:128
	;; [unrolled: 2-line block ×6, first 2 shown]
	v_accvgpr_read_b32 v0, a25
	ds_write_b128 v0, v[210:213]
	ds_write_b128 v0, v[206:209] offset:128
	s_waitcnt lgkmcnt(0)
	; wave barrier
	s_waitcnt lgkmcnt(0)
	ds_read_b128 v[60:63], v196
	ds_read_b128 v[64:67], v196 offset:1792
	ds_read_b128 v[164:167], v196 offset:3584
	;; [unrolled: 1-line block ×13, first 2 shown]
	s_waitcnt lgkmcnt(12)
	v_mul_f64 v[0:1], v[86:87], v[66:67]
	v_mul_f64 v[2:3], v[86:87], v[64:65]
	s_waitcnt lgkmcnt(11)
	v_mul_f64 v[4:5], v[78:79], v[166:167]
	v_mul_f64 v[6:7], v[78:79], v[164:165]
	;; [unrolled: 3-line block ×3, first 2 shown]
	v_fmac_f64_e32 v[0:1], v[84:85], v[64:65]
	v_fma_f64 v[2:3], v[84:85], v[66:67], -v[2:3]
	v_fmac_f64_e32 v[4:5], v[76:77], v[164:165]
	v_fma_f64 v[6:7], v[76:77], v[166:167], -v[6:7]
	;; [unrolled: 2-line block ×3, first 2 shown]
	s_waitcnt lgkmcnt(8)
	v_mul_f64 v[64:65], v[90:91], v[178:179]
	v_mul_f64 v[66:67], v[90:91], v[176:177]
	s_waitcnt lgkmcnt(7)
	v_mul_f64 v[68:69], v[82:83], v[182:183]
	v_mul_f64 v[70:71], v[82:83], v[180:181]
	s_waitcnt lgkmcnt(4)
	v_mul_f64 v[76:77], v[102:103], v[188:189]
	v_fmac_f64_e32 v[64:65], v[88:89], v[176:177]
	v_fma_f64 v[66:67], v[88:89], v[178:179], -v[66:67]
	v_fmac_f64_e32 v[68:69], v[80:81], v[180:181]
	v_fma_f64 v[70:71], v[80:81], v[182:183], -v[70:71]
	v_fma_f64 v[88:89], v[100:101], v[190:191], -v[76:77]
	s_waitcnt lgkmcnt(3)
	v_mul_f64 v[80:81], v[98:99], v[194:195]
	v_mul_f64 v[76:77], v[98:99], v[192:193]
	v_fmac_f64_e32 v[80:81], v[96:97], v[192:193]
	v_fma_f64 v[90:91], v[96:97], v[194:195], -v[76:77]
	s_waitcnt lgkmcnt(2)
	v_mul_f64 v[96:97], v[94:95], v[204:205]
	v_mul_f64 v[76:77], v[94:95], v[202:203]
	v_fmac_f64_e32 v[96:97], v[92:93], v[202:203]
	v_fma_f64 v[92:93], v[92:93], v[204:205], -v[76:77]
	s_waitcnt lgkmcnt(1)
	v_mul_f64 v[76:77], v[114:115], v[206:207]
	v_mul_f64 v[8:9], v[74:75], v[170:171]
	;; [unrolled: 1-line block ×4, first 2 shown]
	v_fma_f64 v[98:99], v[112:113], v[208:209], -v[76:77]
	s_waitcnt lgkmcnt(0)
	v_mul_f64 v[76:77], v[106:107], v[210:211]
	v_fmac_f64_e32 v[8:9], v[72:73], v[168:169]
	v_fma_f64 v[82:83], v[108:109], v[186:187], -v[74:75]
	v_mul_f64 v[74:75], v[102:103], v[190:191]
	v_fma_f64 v[102:103], v[104:105], v[212:213], -v[76:77]
	v_add_f64 v[76:77], v[0:1], v[68:69]
	v_add_f64 v[0:1], v[0:1], -v[68:69]
	v_add_f64 v[68:69], v[4:5], v[64:65]
	v_fma_f64 v[10:11], v[72:73], v[170:171], -v[10:11]
	v_add_f64 v[78:79], v[2:3], v[70:71]
	v_add_f64 v[2:3], v[2:3], -v[70:71]
	v_add_f64 v[70:71], v[6:7], v[66:67]
	v_add_f64 v[4:5], v[4:5], -v[64:65]
	;; [unrolled: 2-line block ×3, first 2 shown]
	v_add_f64 v[14:15], v[68:69], v[76:77]
	v_mul_f64 v[72:73], v[110:111], v[186:187]
	v_add_f64 v[6:7], v[6:7], -v[66:67]
	v_add_f64 v[66:67], v[10:11], v[18:19]
	v_add_f64 v[10:11], v[18:19], -v[10:11]
	v_add_f64 v[18:19], v[70:71], v[78:79]
	v_add_f64 v[14:15], v[64:65], v[14:15]
	v_fmac_f64_e32 v[72:73], v[108:109], v[184:185]
	v_mul_f64 v[94:95], v[114:115], v[208:209]
	v_add_f64 v[108:109], v[8:9], -v[4:5]
	v_add_f64 v[110:111], v[10:11], -v[6:7]
	v_add_f64 v[18:19], v[66:67], v[18:19]
	v_add_f64 v[60:61], v[60:61], v[14:15]
	v_fmac_f64_e32 v[74:75], v[100:101], v[188:189]
	v_fmac_f64_e32 v[94:95], v[112:113], v[206:207]
	v_mul_f64 v[100:101], v[106:107], v[212:213]
	v_add_f64 v[84:85], v[68:69], -v[76:77]
	v_add_f64 v[86:87], v[70:71], -v[78:79]
	;; [unrolled: 1-line block ×6, first 2 shown]
	v_add_f64 v[62:63], v[62:63], v[18:19]
	v_mul_f64 v[112:113], v[108:109], s[8:9]
	v_mul_f64 v[108:109], v[110:111], s[8:9]
	v_mov_b64_e32 v[110:111], v[60:61]
	v_fmac_f64_e32 v[100:101], v[104:105], v[210:211]
	v_add_f64 v[104:105], v[8:9], v[4:5]
	v_add_f64 v[106:107], v[10:11], v[6:7]
	v_add_f64 v[10:11], v[2:3], -v[10:11]
	v_add_f64 v[4:5], v[4:5], -v[0:1]
	v_add_f64 v[6:7], v[6:7], -v[2:3]
	v_mul_f64 v[64:65], v[76:77], s[6:7]
	v_mul_f64 v[66:67], v[78:79], s[6:7]
	;; [unrolled: 1-line block ×4, first 2 shown]
	v_fmac_f64_e32 v[110:111], s[10:11], v[14:15]
	v_mov_b64_e32 v[14:15], v[62:63]
	v_add_f64 v[8:9], v[0:1], -v[8:9]
	v_add_f64 v[0:1], v[104:105], v[0:1]
	v_add_f64 v[2:3], v[106:107], v[2:3]
	v_mul_f64 v[106:107], v[4:5], s[22:23]
	v_mul_f64 v[104:105], v[6:7], s[22:23]
	v_fmac_f64_e32 v[14:15], s[10:11], v[18:19]
	v_fma_f64 v[18:19], v[84:85], s[12:13], -v[76:77]
	v_fma_f64 v[76:77], v[86:87], s[12:13], -v[78:79]
	;; [unrolled: 1-line block ×3, first 2 shown]
	v_fmac_f64_e32 v[64:65], s[2:3], v[68:69]
	v_fma_f64 v[6:7], v[6:7], s[4:5], -v[108:109]
	v_fmac_f64_e32 v[108:109], s[20:21], v[10:11]
	v_fma_f64 v[68:69], v[86:87], s[16:17], -v[66:67]
	;; [unrolled: 2-line block ×3, first 2 shown]
	v_fmac_f64_e32 v[112:113], s[20:21], v[8:9]
	v_fmac_f64_e32 v[106:107], s[14:15], v[8:9]
	;; [unrolled: 1-line block ×3, first 2 shown]
	v_add_f64 v[8:9], v[64:65], v[110:111]
	v_fmac_f64_e32 v[108:109], s[18:19], v[2:3]
	v_add_f64 v[10:11], v[66:67], v[14:15]
	v_add_f64 v[18:19], v[18:19], v[110:111]
	v_add_f64 v[86:87], v[76:77], v[14:15]
	v_add_f64 v[110:111], v[78:79], v[110:111]
	v_add_f64 v[14:15], v[68:69], v[14:15]
	v_fmac_f64_e32 v[112:113], s[18:19], v[0:1]
	v_fmac_f64_e32 v[4:5], s[18:19], v[0:1]
	;; [unrolled: 1-line block ×5, first 2 shown]
	v_add_f64 v[68:69], v[108:109], v[8:9]
	v_add_f64 v[108:109], v[8:9], -v[108:109]
	v_add_f64 v[0:1], v[72:73], v[100:101]
	v_add_f64 v[8:9], v[74:75], v[94:95]
	v_add_f64 v[70:71], v[10:11], -v[112:113]
	v_add_f64 v[64:65], v[104:105], v[110:111]
	v_add_f64 v[76:77], v[18:19], -v[6:7]
	v_add_f64 v[78:79], v[4:5], v[86:87]
	v_add_f64 v[84:85], v[6:7], v[18:19]
	v_add_f64 v[86:87], v[86:87], -v[4:5]
	v_add_f64 v[104:105], v[110:111], -v[104:105]
	v_add_f64 v[110:111], v[112:113], v[10:11]
	v_add_f64 v[2:3], v[82:83], v[102:103]
	v_add_f64 v[4:5], v[72:73], -v[100:101]
	v_add_f64 v[10:11], v[88:89], v[98:99]
	v_add_f64 v[18:19], v[88:89], -v[98:99]
	v_add_f64 v[72:73], v[80:81], v[96:97]
	v_add_f64 v[88:89], v[8:9], v[0:1]
	v_add_f64 v[66:67], v[14:15], -v[106:107]
	v_add_f64 v[106:107], v[106:107], v[14:15]
	v_add_f64 v[6:7], v[82:83], -v[102:103]
	v_add_f64 v[14:15], v[74:75], -v[94:95]
	v_add_f64 v[74:75], v[90:91], v[92:93]
	v_add_f64 v[80:81], v[96:97], -v[80:81]
	v_add_f64 v[82:83], v[92:93], -v[90:91]
	v_add_f64 v[90:91], v[10:11], v[2:3]
	v_add_f64 v[92:93], v[8:9], -v[0:1]
	v_add_f64 v[0:1], v[0:1], -v[72:73]
	v_add_f64 v[8:9], v[72:73], -v[8:9]
	v_add_f64 v[72:73], v[72:73], v[88:89]
	v_add_f64 v[94:95], v[10:11], -v[2:3]
	v_add_f64 v[2:3], v[2:3], -v[74:75]
	;; [unrolled: 1-line block ×3, first 2 shown]
	v_add_f64 v[96:97], v[80:81], v[14:15]
	v_add_f64 v[74:75], v[74:75], v[90:91]
	;; [unrolled: 1-line block ×4, first 2 shown]
	v_add_f64 v[100:101], v[80:81], -v[14:15]
	v_add_f64 v[102:103], v[82:83], -v[18:19]
	;; [unrolled: 1-line block ×5, first 2 shown]
	v_add_f64 v[4:5], v[96:97], v[4:5]
	v_add_f64 v[58:59], v[58:59], v[74:75]
	v_mov_b64_e32 v[96:97], v[56:57]
	v_add_f64 v[82:83], v[6:7], -v[82:83]
	v_mul_f64 v[0:1], v[0:1], s[6:7]
	v_mul_f64 v[2:3], v[2:3], s[6:7]
	;; [unrolled: 1-line block ×8, first 2 shown]
	v_fmac_f64_e32 v[96:97], s[10:11], v[72:73]
	v_mov_b64_e32 v[72:73], v[58:59]
	v_add_f64 v[6:7], v[98:99], v[6:7]
	v_fmac_f64_e32 v[72:73], s[10:11], v[74:75]
	v_fma_f64 v[74:75], v[92:93], s[12:13], -v[88:89]
	v_fma_f64 v[88:89], v[94:95], s[12:13], -v[90:91]
	;; [unrolled: 1-line block ×3, first 2 shown]
	v_fmac_f64_e32 v[0:1], s[2:3], v[8:9]
	v_fma_f64 v[8:9], v[94:95], s[16:17], -v[2:3]
	v_fmac_f64_e32 v[2:3], s[2:3], v[10:11]
	v_fma_f64 v[10:11], v[14:15], s[4:5], -v[112:113]
	;; [unrolled: 2-line block ×3, first 2 shown]
	v_fmac_f64_e32 v[114:115], s[20:21], v[82:83]
	v_fmac_f64_e32 v[164:165], s[14:15], v[80:81]
	v_fmac_f64_e32 v[166:167], s[14:15], v[82:83]
	v_add_f64 v[0:1], v[0:1], v[96:97]
	v_add_f64 v[2:3], v[2:3], v[72:73]
	v_add_f64 v[18:19], v[74:75], v[96:97]
	v_add_f64 v[74:75], v[88:89], v[72:73]
	v_add_f64 v[80:81], v[90:91], v[96:97]
	v_add_f64 v[8:9], v[8:9], v[72:73]
	v_fmac_f64_e32 v[112:113], s[18:19], v[4:5]
	v_fmac_f64_e32 v[114:115], s[18:19], v[6:7]
	v_fmac_f64_e32 v[10:11], s[18:19], v[4:5]
	v_fmac_f64_e32 v[164:165], s[18:19], v[4:5]
	v_fmac_f64_e32 v[166:167], s[18:19], v[6:7]
	v_fmac_f64_e32 v[14:15], s[18:19], v[6:7]
	v_add_f64 v[102:103], v[2:3], -v[112:113]
	v_add_f64 v[96:97], v[166:167], v[80:81]
	v_add_f64 v[98:99], v[8:9], -v[164:165]
	v_add_f64 v[94:95], v[10:11], v[74:75]
	v_add_f64 v[90:91], v[74:75], -v[10:11]
	v_add_f64 v[80:81], v[80:81], -v[166:167]
	v_add_f64 v[82:83], v[164:165], v[8:9]
	v_add_f64 v[72:73], v[0:1], -v[114:115]
	v_add_f64 v[74:75], v[112:113], v[2:3]
	v_add_f64 v[100:101], v[114:115], v[0:1]
	v_add_f64 v[92:93], v[18:19], -v[14:15]
	v_add_f64 v[88:89], v[14:15], v[18:19]
	s_waitcnt lgkmcnt(0)
	; wave barrier
	ds_write_b128 v16, v[60:63]
	ds_write_b128 v16, v[68:71] offset:256
	ds_write_b128 v16, v[64:67] offset:512
	;; [unrolled: 1-line block ×6, first 2 shown]
	ds_write_b128 v12, v[56:59]
	ds_write_b128 v12, v[100:103] offset:256
	ds_write_b128 v12, v[96:99] offset:512
	;; [unrolled: 1-line block ×6, first 2 shown]
	s_waitcnt lgkmcnt(0)
	; wave barrier
	s_waitcnt lgkmcnt(0)
	ds_read_b128 v[60:63], v196
	ds_read_b128 v[0:3], v196 offset:1792
	ds_read_b128 v[64:67], v196 offset:3584
	;; [unrolled: 1-line block ×13, first 2 shown]
	s_waitcnt lgkmcnt(10)
	v_mul_f64 v[8:9], v[122:123], v[70:71]
	v_fmac_f64_e32 v[8:9], v[120:121], v[68:69]
	v_mul_f64 v[10:11], v[122:123], v[68:69]
	s_waitcnt lgkmcnt(5)
	v_mul_f64 v[68:69], v[154:155], v[84:85]
	v_mul_f64 v[4:5], v[134:135], v[2:3]
	v_fma_f64 v[100:101], v[152:153], v[86:87], -v[68:69]
	s_waitcnt lgkmcnt(4)
	v_mul_f64 v[90:91], v[150:151], v[98:99]
	v_mul_f64 v[68:69], v[150:151], v[96:97]
	v_fmac_f64_e32 v[4:5], v[132:133], v[0:1]
	v_mul_f64 v[0:1], v[134:135], v[0:1]
	v_fmac_f64_e32 v[90:91], v[148:149], v[96:97]
	v_fma_f64 v[96:97], v[148:149], v[98:99], -v[68:69]
	s_waitcnt lgkmcnt(3)
	v_mul_f64 v[68:69], v[146:147], v[102:103]
	v_fma_f64 v[0:1], v[132:133], v[2:3], -v[0:1]
	v_mul_f64 v[2:3], v[126:127], v[66:67]
	v_mul_f64 v[88:89], v[146:147], v[104:105]
	v_fma_f64 v[92:93], v[144:145], v[104:105], -v[68:69]
	s_waitcnt lgkmcnt(2)
	v_mul_f64 v[68:69], v[142:143], v[106:107]
	v_fmac_f64_e32 v[2:3], v[124:125], v[64:65]
	v_mul_f64 v[6:7], v[126:127], v[64:65]
	v_mul_f64 v[16:17], v[138:139], v[78:79]
	;; [unrolled: 1-line block ×3, first 2 shown]
	v_fmac_f64_e32 v[88:89], v[144:145], v[102:103]
	v_mul_f64 v[98:99], v[142:143], v[108:109]
	v_fma_f64 v[102:103], v[140:141], v[108:109], -v[68:69]
	s_waitcnt lgkmcnt(1)
	v_mul_f64 v[68:69], v[162:163], v[110:111]
	v_fma_f64 v[6:7], v[124:125], v[66:67], -v[6:7]
	v_mul_f64 v[12:13], v[118:119], v[74:75]
	v_fmac_f64_e32 v[16:17], v[136:137], v[76:77]
	v_mul_f64 v[18:19], v[138:139], v[76:77]
	v_fmac_f64_e32 v[64:65], v[128:129], v[80:81]
	;; [unrolled: 2-line block ×3, first 2 shown]
	v_mul_f64 v[104:105], v[162:163], v[112:113]
	v_fma_f64 v[106:107], v[160:161], v[112:113], -v[68:69]
	s_waitcnt lgkmcnt(0)
	v_mul_f64 v[68:69], v[158:159], v[164:165]
	v_fmac_f64_e32 v[12:13], v[116:117], v[72:73]
	v_mul_f64 v[14:15], v[118:119], v[72:73]
	v_fma_f64 v[18:19], v[136:137], v[78:79], -v[18:19]
	v_fma_f64 v[66:67], v[128:129], v[82:83], -v[66:67]
	v_fmac_f64_e32 v[104:105], v[160:161], v[110:111]
	v_fma_f64 v[110:111], v[156:157], v[166:167], -v[68:69]
	v_add_f64 v[68:69], v[4:5], v[64:65]
	v_add_f64 v[4:5], v[4:5], -v[64:65]
	v_add_f64 v[64:65], v[2:3], v[16:17]
	v_fma_f64 v[10:11], v[120:121], v[70:71], -v[10:11]
	v_fma_f64 v[14:15], v[116:117], v[74:75], -v[14:15]
	v_add_f64 v[70:71], v[0:1], v[66:67]
	v_add_f64 v[0:1], v[0:1], -v[66:67]
	v_add_f64 v[66:67], v[6:7], v[18:19]
	v_add_f64 v[2:3], v[2:3], -v[16:17]
	;; [unrolled: 2-line block ×5, first 2 shown]
	v_add_f64 v[14:15], v[66:67], v[70:71]
	v_add_f64 v[12:13], v[16:17], v[12:13]
	;; [unrolled: 1-line block ×5, first 2 shown]
	v_mul_f64 v[94:95], v[154:155], v[86:87]
	v_add_f64 v[72:73], v[64:65], -v[68:69]
	v_add_f64 v[74:75], v[66:67], -v[70:71]
	;; [unrolled: 1-line block ×10, first 2 shown]
	v_add_f64 v[4:5], v[76:77], v[4:5]
	v_add_f64 v[62:63], v[62:63], v[14:15]
	v_mov_b64_e32 v[76:77], v[60:61]
	v_fmac_f64_e32 v[94:95], v[152:153], v[84:85]
	v_add_f64 v[78:79], v[10:11], v[6:7]
	v_add_f64 v[10:11], v[0:1], -v[10:11]
	v_add_f64 v[6:7], v[6:7], -v[0:1]
	v_mul_f64 v[16:17], v[68:69], s[6:7]
	v_mul_f64 v[18:19], v[70:71], s[6:7]
	;; [unrolled: 1-line block ×5, first 2 shown]
	v_fmac_f64_e32 v[76:77], s[10:11], v[12:13]
	v_mov_b64_e32 v[12:13], v[62:63]
	v_mul_f64 v[108:109], v[158:159], v[166:167]
	v_add_f64 v[0:1], v[78:79], v[0:1]
	v_mul_f64 v[86:87], v[80:81], s[8:9]
	v_mul_f64 v[82:83], v[2:3], s[22:23]
	;; [unrolled: 1-line block ×3, first 2 shown]
	v_fmac_f64_e32 v[12:13], s[10:11], v[14:15]
	v_fma_f64 v[14:15], v[72:73], s[12:13], -v[68:69]
	v_fma_f64 v[68:69], v[74:75], s[12:13], -v[70:71]
	;; [unrolled: 1-line block ×3, first 2 shown]
	v_fmac_f64_e32 v[16:17], s[2:3], v[64:65]
	v_fma_f64 v[6:7], v[6:7], s[4:5], -v[84:85]
	v_fmac_f64_e32 v[84:85], s[20:21], v[10:11]
	v_fmac_f64_e32 v[108:109], v[156:157], v[164:165]
	v_fma_f64 v[64:65], v[74:75], s[16:17], -v[18:19]
	v_fmac_f64_e32 v[18:19], s[2:3], v[66:67]
	v_fma_f64 v[2:3], v[2:3], s[4:5], -v[86:87]
	v_fmac_f64_e32 v[86:87], s[20:21], v[8:9]
	v_fmac_f64_e32 v[82:83], s[14:15], v[8:9]
	;; [unrolled: 1-line block ×3, first 2 shown]
	v_add_f64 v[8:9], v[16:17], v[76:77]
	v_fmac_f64_e32 v[84:85], s[18:19], v[0:1]
	v_add_f64 v[10:11], v[18:19], v[12:13]
	v_add_f64 v[16:17], v[68:69], v[12:13]
	;; [unrolled: 1-line block ×4, first 2 shown]
	v_fmac_f64_e32 v[86:87], s[18:19], v[4:5]
	v_fmac_f64_e32 v[2:3], s[18:19], v[4:5]
	;; [unrolled: 1-line block ×5, first 2 shown]
	v_add_f64 v[68:69], v[84:85], v[8:9]
	v_add_f64 v[84:85], v[8:9], -v[84:85]
	v_add_f64 v[0:1], v[94:95], v[108:109]
	v_add_f64 v[8:9], v[90:91], v[104:105]
	;; [unrolled: 1-line block ×3, first 2 shown]
	v_add_f64 v[70:71], v[10:11], -v[86:87]
	v_add_f64 v[64:65], v[80:81], v[18:19]
	v_add_f64 v[66:67], v[12:13], -v[82:83]
	v_add_f64 v[74:75], v[2:3], v[16:17]
	v_add_f64 v[78:79], v[16:17], -v[2:3]
	v_add_f64 v[80:81], v[18:19], -v[80:81]
	v_add_f64 v[82:83], v[82:83], v[12:13]
	v_add_f64 v[86:87], v[86:87], v[10:11]
	;; [unrolled: 1-line block ×4, first 2 shown]
	v_add_f64 v[12:13], v[90:91], -v[104:105]
	v_add_f64 v[16:17], v[88:89], v[98:99]
	v_add_f64 v[18:19], v[92:93], v[102:103]
	v_add_f64 v[88:89], v[98:99], -v[88:89]
	v_add_f64 v[90:91], v[102:103], -v[92:93]
	v_add_f64 v[92:93], v[8:9], v[0:1]
	v_add_f64 v[72:73], v[14:15], -v[6:7]
	v_add_f64 v[76:77], v[6:7], v[14:15]
	v_add_f64 v[4:5], v[94:95], -v[108:109]
	v_add_f64 v[6:7], v[100:101], -v[110:111]
	;; [unrolled: 1-line block ×3, first 2 shown]
	v_add_f64 v[94:95], v[10:11], v[2:3]
	v_add_f64 v[96:97], v[8:9], -v[0:1]
	v_add_f64 v[100:101], v[0:1], -v[16:17]
	;; [unrolled: 1-line block ×3, first 2 shown]
	v_add_f64 v[0:1], v[88:89], v[12:13]
	v_add_f64 v[16:17], v[16:17], v[92:93]
	v_add_f64 v[98:99], v[10:11], -v[2:3]
	v_add_f64 v[102:103], v[2:3], -v[18:19]
	;; [unrolled: 1-line block ×3, first 2 shown]
	v_add_f64 v[2:3], v[90:91], v[14:15]
	v_add_f64 v[104:105], v[88:89], -v[12:13]
	v_add_f64 v[88:89], v[4:5], -v[88:89]
	;; [unrolled: 1-line block ×3, first 2 shown]
	v_add_f64 v[18:19], v[18:19], v[94:95]
	v_add_f64 v[4:5], v[0:1], v[4:5]
	;; [unrolled: 1-line block ×3, first 2 shown]
	v_add_f64 v[106:107], v[90:91], -v[14:15]
	v_add_f64 v[90:91], v[6:7], -v[90:91]
	;; [unrolled: 1-line block ×3, first 2 shown]
	v_add_f64 v[6:7], v[2:3], v[6:7]
	v_add_f64 v[2:3], v[58:59], v[18:19]
	v_mov_b64_e32 v[108:109], v[0:1]
	v_mul_f64 v[56:57], v[100:101], s[6:7]
	v_mul_f64 v[58:59], v[102:103], s[6:7]
	;; [unrolled: 1-line block ×8, first 2 shown]
	v_fmac_f64_e32 v[108:109], s[10:11], v[16:17]
	v_mov_b64_e32 v[16:17], v[2:3]
	v_fmac_f64_e32 v[16:17], s[10:11], v[18:19]
	v_fma_f64 v[8:9], s[2:3], v[8:9], v[56:57]
	v_fma_f64 v[18:19], v[96:97], s[12:13], -v[92:93]
	v_fma_f64 v[92:93], v[98:99], s[12:13], -v[94:95]
	;; [unrolled: 1-line block ×4, first 2 shown]
	v_fmac_f64_e32 v[58:59], s[2:3], v[10:11]
	v_fma_f64 v[10:11], s[20:21], v[88:89], v[100:101]
	v_fma_f64 v[12:13], v[12:13], s[4:5], -v[100:101]
	v_fma_f64 v[14:15], v[14:15], s[4:5], -v[104:105]
	v_fmac_f64_e32 v[104:105], s[20:21], v[90:91]
	v_fmac_f64_e32 v[102:103], s[14:15], v[88:89]
	v_fmac_f64_e32 v[106:107], s[14:15], v[90:91]
	v_add_f64 v[8:9], v[8:9], v[108:109]
	v_add_f64 v[110:111], v[58:59], v[16:17]
	;; [unrolled: 1-line block ×6, first 2 shown]
	v_fmac_f64_e32 v[10:11], s[18:19], v[4:5]
	v_fmac_f64_e32 v[104:105], s[18:19], v[6:7]
	;; [unrolled: 1-line block ×6, first 2 shown]
	v_add_f64 v[56:57], v[104:105], v[8:9]
	v_add_f64 v[58:59], v[110:111], -v[10:11]
	v_add_f64 v[88:89], v[106:107], v[100:101]
	v_add_f64 v[90:91], v[16:17], -v[102:103]
	v_add_f64 v[92:93], v[18:19], -v[14:15]
	v_add_f64 v[94:95], v[12:13], v[98:99]
	v_add_f64 v[96:97], v[14:15], v[18:19]
	v_add_f64 v[98:99], v[98:99], -v[12:13]
	v_add_f64 v[100:101], v[100:101], -v[106:107]
	v_add_f64 v[102:103], v[102:103], v[16:17]
	v_add_f64 v[104:105], v[8:9], -v[104:105]
	v_add_f64 v[106:107], v[10:11], v[110:111]
	ds_write_b128 v196, v[60:63]
	ds_write_b128 v196, v[68:71] offset:1792
	ds_write_b128 v196, v[64:67] offset:3584
	;; [unrolled: 1-line block ×13, first 2 shown]
	s_waitcnt lgkmcnt(0)
	; wave barrier
	s_waitcnt lgkmcnt(0)
	ds_read_b128 v[0:3], v196
	s_mov_b32 s2, 0xa72f0539
	s_mov_b32 s3, 0x3f54e5e0
	s_waitcnt lgkmcnt(0)
	v_mul_f64 v[4:5], v[244:245], v[2:3]
	v_fmac_f64_e32 v[4:5], v[242:243], v[0:1]
	v_mul_f64 v[0:1], v[244:245], v[0:1]
	v_fma_f64 v[0:1], v[242:243], v[2:3], -v[0:1]
	v_mul_f64 v[58:59], v[0:1], s[2:3]
	v_mad_u64_u32 v[0:1], s[4:5], s0, v236, 0
	v_mov_b32_e32 v2, v1
	v_mad_u64_u32 v[2:3], s[4:5], s1, v236, v[2:3]
	v_mov_b32_e32 v1, v2
	v_accvgpr_read_b32 v3, a1
	v_accvgpr_read_b32 v2, a0
	v_mul_f64 v[56:57], v[4:5], s[2:3]
	v_lshl_add_u64 v[4:5], v[246:247], 4, v[2:3]
	v_lshl_add_u64 v[6:7], v[0:1], 4, v[4:5]
	ds_read_b128 v[0:3], v196 offset:6272
	global_store_dwordx4 v[6:7], v[56:59], off
	v_mad_u64_u32 v[6:7], s[4:5], s0, v234, v[6:7]
	s_mul_i32 s4, s1, 0x1880
	s_waitcnt lgkmcnt(0)
	v_mul_f64 v[8:9], v[22:23], v[2:3]
	v_fmac_f64_e32 v[8:9], v[20:21], v[0:1]
	v_mul_f64 v[0:1], v[22:23], v[0:1]
	v_fma_f64 v[0:1], v[20:21], v[2:3], -v[0:1]
	v_mul_f64 v[18:19], v[0:1], s[2:3]
	ds_read_b128 v[0:3], v196 offset:896
	v_mul_f64 v[16:17], v[8:9], s[2:3]
	v_add_u32_e32 v7, s4, v7
	global_store_dwordx4 v[6:7], v[16:19], off
	s_mul_i32 s5, s1, 0xffffeb00
	s_waitcnt lgkmcnt(0)
	v_mul_f64 v[8:9], v[250:251], v[2:3]
	v_fmac_f64_e32 v[8:9], v[248:249], v[0:1]
	v_mul_f64 v[0:1], v[250:251], v[0:1]
	v_fma_f64 v[0:1], v[248:249], v[2:3], -v[0:1]
	v_mul_f64 v[18:19], v[0:1], s[2:3]
	ds_read_b128 v[0:3], v196 offset:7168
	v_mul_f64 v[16:17], v[8:9], s[2:3]
	v_mad_u64_u32 v[6:7], s[6:7], s0, v235, v[6:7]
	s_sub_i32 s5, s5, s0
	s_waitcnt lgkmcnt(0)
	v_mul_f64 v[8:9], v[200:201], v[2:3]
	v_fmac_f64_e32 v[8:9], v[198:199], v[0:1]
	v_mul_f64 v[0:1], v[200:201], v[0:1]
	v_fma_f64 v[0:1], v[198:199], v[2:3], -v[0:1]
	v_accvgpr_read_b32 v3, a6
	v_mul_f64 v[10:11], v[0:1], s[2:3]
	v_mad_u64_u32 v[0:1], s[6:7], s0, v3, 0
	v_mov_b32_e32 v2, v1
	v_mad_u64_u32 v[2:3], s[6:7], s1, v3, v[2:3]
	v_mov_b32_e32 v1, v2
	v_add_u32_e32 v7, s5, v7
	v_mul_f64 v[8:9], v[8:9], s[2:3]
	v_lshl_add_u64 v[0:1], v[0:1], 4, v[4:5]
	global_store_dwordx4 v[6:7], v[16:19], off
	global_store_dwordx4 v[0:1], v[8:11], off
	ds_read_b128 v[0:3], v196 offset:1792
	s_mulk_i32 s1, 0x380
	s_waitcnt lgkmcnt(0)
	v_mul_f64 v[4:5], v[26:27], v[2:3]
	v_fmac_f64_e32 v[4:5], v[24:25], v[0:1]
	v_mul_f64 v[0:1], v[26:27], v[0:1]
	v_fma_f64 v[0:1], v[24:25], v[2:3], -v[0:1]
	v_mul_f64 v[10:11], v[0:1], s[2:3]
	v_mov_b32_e32 v0, 0x380
	v_mul_f64 v[8:9], v[4:5], s[2:3]
	v_mad_u64_u32 v[4:5], s[6:7], s0, v0, v[6:7]
	ds_read_b128 v[0:3], v196 offset:8064
	v_add_u32_e32 v5, s1, v5
	global_store_dwordx4 v[4:5], v[8:11], off
	v_mad_u64_u32 v[4:5], s[6:7], s0, v234, v[4:5]
	s_waitcnt lgkmcnt(0)
	v_mul_f64 v[6:7], v[30:31], v[2:3]
	v_fmac_f64_e32 v[6:7], v[28:29], v[0:1]
	v_mul_f64 v[0:1], v[30:31], v[0:1]
	v_fma_f64 v[0:1], v[28:29], v[2:3], -v[0:1]
	v_mul_f64 v[10:11], v[0:1], s[2:3]
	ds_read_b128 v[0:3], v196 offset:2688
	v_mul_f64 v[8:9], v[6:7], s[2:3]
	v_add_u32_e32 v5, s4, v5
	global_store_dwordx4 v[4:5], v[8:11], off
	v_mad_u64_u32 v[4:5], s[6:7], s0, v235, v[4:5]
	s_waitcnt lgkmcnt(0)
	v_mul_f64 v[6:7], v[34:35], v[2:3]
	v_fmac_f64_e32 v[6:7], v[32:33], v[0:1]
	v_mul_f64 v[0:1], v[34:35], v[0:1]
	v_fma_f64 v[0:1], v[32:33], v[2:3], -v[0:1]
	v_mul_f64 v[10:11], v[0:1], s[2:3]
	ds_read_b128 v[0:3], v196 offset:8960
	v_mul_f64 v[8:9], v[6:7], s[2:3]
	;; [unrolled: 11-line block ×6, first 2 shown]
	v_add_u32_e32 v5, s5, v5
	global_store_dwordx4 v[4:5], v[8:11], off
	s_waitcnt lgkmcnt(0)
	v_mul_f64 v[6:7], v[54:55], v[2:3]
	v_fmac_f64_e32 v[6:7], v[52:53], v[0:1]
	v_mul_f64 v[0:1], v[54:55], v[0:1]
	v_fma_f64 v[0:1], v[52:53], v[2:3], -v[0:1]
	v_mul_f64 v[12:13], v[0:1], s[2:3]
	ds_read_b128 v[0:3], v196 offset:5376
	v_mad_u64_u32 v[8:9], s[6:7], s0, v234, v[4:5]
	v_mul_f64 v[10:11], v[6:7], s[2:3]
	v_add_u32_e32 v9, s4, v9
	s_waitcnt lgkmcnt(0)
	v_mul_f64 v[4:5], v[254:255], v[2:3]
	v_fmac_f64_e32 v[4:5], v[252:253], v[0:1]
	v_mul_f64 v[0:1], v[254:255], v[0:1]
	v_fma_f64 v[0:1], v[252:253], v[2:3], -v[0:1]
	global_store_dwordx4 v[8:9], v[10:13], off
	s_nop 1
	v_mul_f64 v[12:13], v[0:1], s[2:3]
	ds_read_b128 v[0:3], v196 offset:11648
	v_mul_f64 v[10:11], v[4:5], s[2:3]
	v_mad_u64_u32 v[4:5], s[6:7], s0, v235, v[8:9]
	v_add_u32_e32 v5, s5, v5
	global_store_dwordx4 v[4:5], v[10:13], off
	s_nop 1
	v_accvgpr_read_b32 v11, a5
	v_accvgpr_read_b32 v10, a4
	;; [unrolled: 1-line block ×4, first 2 shown]
	s_waitcnt lgkmcnt(0)
	v_mul_f64 v[6:7], v[10:11], v[2:3]
	v_fmac_f64_e32 v[6:7], v[8:9], v[0:1]
	v_mul_f64 v[0:1], v[10:11], v[0:1]
	v_fma_f64 v[0:1], v[8:9], v[2:3], -v[0:1]
	v_mul_f64 v[8:9], v[0:1], s[2:3]
	v_mad_u64_u32 v[0:1], s[0:1], s0, v234, v[4:5]
	v_mul_f64 v[6:7], v[6:7], s[2:3]
	v_add_u32_e32 v1, s4, v1
	global_store_dwordx4 v[0:1], v[6:9], off
.LBB0_2:
	s_endpgm
	.section	.rodata,"a",@progbits
	.p2align	6, 0x0
	.amdhsa_kernel bluestein_single_back_len784_dim1_dp_op_CI_CI
		.amdhsa_group_segment_fixed_size 12544
		.amdhsa_private_segment_fixed_size 0
		.amdhsa_kernarg_size 104
		.amdhsa_user_sgpr_count 2
		.amdhsa_user_sgpr_dispatch_ptr 0
		.amdhsa_user_sgpr_queue_ptr 0
		.amdhsa_user_sgpr_kernarg_segment_ptr 1
		.amdhsa_user_sgpr_dispatch_id 0
		.amdhsa_user_sgpr_kernarg_preload_length 0
		.amdhsa_user_sgpr_kernarg_preload_offset 0
		.amdhsa_user_sgpr_private_segment_size 0
		.amdhsa_uses_dynamic_stack 0
		.amdhsa_enable_private_segment 0
		.amdhsa_system_sgpr_workgroup_id_x 1
		.amdhsa_system_sgpr_workgroup_id_y 0
		.amdhsa_system_sgpr_workgroup_id_z 0
		.amdhsa_system_sgpr_workgroup_info 0
		.amdhsa_system_vgpr_workitem_id 0
		.amdhsa_next_free_vgpr 284
		.amdhsa_next_free_sgpr 30
		.amdhsa_accum_offset 256
		.amdhsa_reserve_vcc 1
		.amdhsa_float_round_mode_32 0
		.amdhsa_float_round_mode_16_64 0
		.amdhsa_float_denorm_mode_32 3
		.amdhsa_float_denorm_mode_16_64 3
		.amdhsa_dx10_clamp 1
		.amdhsa_ieee_mode 1
		.amdhsa_fp16_overflow 0
		.amdhsa_tg_split 0
		.amdhsa_exception_fp_ieee_invalid_op 0
		.amdhsa_exception_fp_denorm_src 0
		.amdhsa_exception_fp_ieee_div_zero 0
		.amdhsa_exception_fp_ieee_overflow 0
		.amdhsa_exception_fp_ieee_underflow 0
		.amdhsa_exception_fp_ieee_inexact 0
		.amdhsa_exception_int_div_zero 0
	.end_amdhsa_kernel
	.text
.Lfunc_end0:
	.size	bluestein_single_back_len784_dim1_dp_op_CI_CI, .Lfunc_end0-bluestein_single_back_len784_dim1_dp_op_CI_CI
                                        ; -- End function
	.section	.AMDGPU.csdata,"",@progbits
; Kernel info:
; codeLenInByte = 16816
; NumSgprs: 36
; NumVgprs: 256
; NumAgprs: 28
; TotalNumVgprs: 284
; ScratchSize: 0
; MemoryBound: 0
; FloatMode: 240
; IeeeMode: 1
; LDSByteSize: 12544 bytes/workgroup (compile time only)
; SGPRBlocks: 4
; VGPRBlocks: 35
; NumSGPRsForWavesPerEU: 36
; NumVGPRsForWavesPerEU: 284
; AccumOffset: 256
; Occupancy: 1
; WaveLimiterHint : 1
; COMPUTE_PGM_RSRC2:SCRATCH_EN: 0
; COMPUTE_PGM_RSRC2:USER_SGPR: 2
; COMPUTE_PGM_RSRC2:TRAP_HANDLER: 0
; COMPUTE_PGM_RSRC2:TGID_X_EN: 1
; COMPUTE_PGM_RSRC2:TGID_Y_EN: 0
; COMPUTE_PGM_RSRC2:TGID_Z_EN: 0
; COMPUTE_PGM_RSRC2:TIDIG_COMP_CNT: 0
; COMPUTE_PGM_RSRC3_GFX90A:ACCUM_OFFSET: 63
; COMPUTE_PGM_RSRC3_GFX90A:TG_SPLIT: 0
	.text
	.p2alignl 6, 3212836864
	.fill 256, 4, 3212836864
	.type	__hip_cuid_1d9d744e8a4f115a,@object ; @__hip_cuid_1d9d744e8a4f115a
	.section	.bss,"aw",@nobits
	.globl	__hip_cuid_1d9d744e8a4f115a
__hip_cuid_1d9d744e8a4f115a:
	.byte	0                               ; 0x0
	.size	__hip_cuid_1d9d744e8a4f115a, 1

	.ident	"AMD clang version 19.0.0git (https://github.com/RadeonOpenCompute/llvm-project roc-6.4.0 25133 c7fe45cf4b819c5991fe208aaa96edf142730f1d)"
	.section	".note.GNU-stack","",@progbits
	.addrsig
	.addrsig_sym __hip_cuid_1d9d744e8a4f115a
	.amdgpu_metadata
---
amdhsa.kernels:
  - .agpr_count:     28
    .args:
      - .actual_access:  read_only
        .address_space:  global
        .offset:         0
        .size:           8
        .value_kind:     global_buffer
      - .actual_access:  read_only
        .address_space:  global
        .offset:         8
        .size:           8
        .value_kind:     global_buffer
      - .actual_access:  read_only
        .address_space:  global
        .offset:         16
        .size:           8
        .value_kind:     global_buffer
      - .actual_access:  read_only
        .address_space:  global
        .offset:         24
        .size:           8
        .value_kind:     global_buffer
      - .actual_access:  read_only
        .address_space:  global
        .offset:         32
        .size:           8
        .value_kind:     global_buffer
      - .offset:         40
        .size:           8
        .value_kind:     by_value
      - .address_space:  global
        .offset:         48
        .size:           8
        .value_kind:     global_buffer
      - .address_space:  global
        .offset:         56
        .size:           8
        .value_kind:     global_buffer
      - .address_space:  global
        .offset:         64
        .size:           8
        .value_kind:     global_buffer
      - .address_space:  global
        .offset:         72
        .size:           8
        .value_kind:     global_buffer
      - .offset:         80
        .size:           4
        .value_kind:     by_value
      - .address_space:  global
        .offset:         88
        .size:           8
        .value_kind:     global_buffer
      - .address_space:  global
        .offset:         96
        .size:           8
        .value_kind:     global_buffer
    .group_segment_fixed_size: 12544
    .kernarg_segment_align: 8
    .kernarg_segment_size: 104
    .language:       OpenCL C
    .language_version:
      - 2
      - 0
    .max_flat_workgroup_size: 56
    .name:           bluestein_single_back_len784_dim1_dp_op_CI_CI
    .private_segment_fixed_size: 0
    .sgpr_count:     36
    .sgpr_spill_count: 0
    .symbol:         bluestein_single_back_len784_dim1_dp_op_CI_CI.kd
    .uniform_work_group_size: 1
    .uses_dynamic_stack: false
    .vgpr_count:     284
    .vgpr_spill_count: 0
    .wavefront_size: 64
amdhsa.target:   amdgcn-amd-amdhsa--gfx950
amdhsa.version:
  - 1
  - 2
...

	.end_amdgpu_metadata
